;; amdgpu-corpus repo=ROCm/rocFFT kind=compiled arch=gfx950 opt=O3
	.text
	.amdgcn_target "amdgcn-amd-amdhsa--gfx950"
	.amdhsa_code_object_version 6
	.protected	fft_rtc_back_len3000_factors_10_3_10_10_wgs_100_tpt_100_halfLds_dp_ip_CI_unitstride_sbrr_C2R_dirReg ; -- Begin function fft_rtc_back_len3000_factors_10_3_10_10_wgs_100_tpt_100_halfLds_dp_ip_CI_unitstride_sbrr_C2R_dirReg
	.globl	fft_rtc_back_len3000_factors_10_3_10_10_wgs_100_tpt_100_halfLds_dp_ip_CI_unitstride_sbrr_C2R_dirReg
	.p2align	8
	.type	fft_rtc_back_len3000_factors_10_3_10_10_wgs_100_tpt_100_halfLds_dp_ip_CI_unitstride_sbrr_C2R_dirReg,@function
fft_rtc_back_len3000_factors_10_3_10_10_wgs_100_tpt_100_halfLds_dp_ip_CI_unitstride_sbrr_C2R_dirReg: ; @fft_rtc_back_len3000_factors_10_3_10_10_wgs_100_tpt_100_halfLds_dp_ip_CI_unitstride_sbrr_C2R_dirReg
; %bb.0:
	s_load_dwordx2 s[8:9], s[0:1], 0x50
	s_load_dwordx4 s[4:7], s[0:1], 0x0
	s_load_dwordx2 s[10:11], s[0:1], 0x18
	v_mul_u32_u24_e32 v1, 0x290, v0
	v_add_u32_sdwa v6, s2, v1 dst_sel:DWORD dst_unused:UNUSED_PAD src0_sel:DWORD src1_sel:WORD_1
	v_mov_b32_e32 v4, 0
	s_waitcnt lgkmcnt(0)
	v_cmp_lt_u64_e64 s[2:3], s[6:7], 2
	v_mov_b32_e32 v7, v4
	s_and_b64 vcc, exec, s[2:3]
	v_mov_b64_e32 v[2:3], 0
	s_cbranch_vccnz .LBB0_8
; %bb.1:
	s_load_dwordx2 s[2:3], s[0:1], 0x10
	s_add_u32 s12, s10, 8
	s_addc_u32 s13, s11, 0
	s_mov_b64 s[14:15], 1
	v_mov_b64_e32 v[2:3], 0
	s_waitcnt lgkmcnt(0)
	s_add_u32 s16, s2, 8
	s_addc_u32 s17, s3, 0
.LBB0_2:                                ; =>This Inner Loop Header: Depth=1
	s_load_dwordx2 s[18:19], s[16:17], 0x0
                                        ; implicit-def: $vgpr8_vgpr9
	s_waitcnt lgkmcnt(0)
	v_or_b32_e32 v5, s19, v7
	v_cmp_ne_u64_e32 vcc, 0, v[4:5]
	s_and_saveexec_b64 s[2:3], vcc
	s_xor_b64 s[20:21], exec, s[2:3]
	s_cbranch_execz .LBB0_4
; %bb.3:                                ;   in Loop: Header=BB0_2 Depth=1
	v_cvt_f32_u32_e32 v1, s18
	v_cvt_f32_u32_e32 v5, s19
	s_sub_u32 s2, 0, s18
	s_subb_u32 s3, 0, s19
	v_fmac_f32_e32 v1, 0x4f800000, v5
	v_rcp_f32_e32 v1, v1
	s_nop 0
	v_mul_f32_e32 v1, 0x5f7ffffc, v1
	v_mul_f32_e32 v5, 0x2f800000, v1
	v_trunc_f32_e32 v5, v5
	v_fmac_f32_e32 v1, 0xcf800000, v5
	v_cvt_u32_f32_e32 v5, v5
	v_cvt_u32_f32_e32 v1, v1
	v_mul_lo_u32 v8, s2, v5
	v_mul_hi_u32 v10, s2, v1
	v_mul_lo_u32 v9, s3, v1
	v_add_u32_e32 v10, v10, v8
	v_mul_lo_u32 v12, s2, v1
	v_add_u32_e32 v13, v10, v9
	v_mul_hi_u32 v8, v1, v12
	v_mul_hi_u32 v11, v1, v13
	v_mul_lo_u32 v10, v1, v13
	v_mov_b32_e32 v9, v4
	v_lshl_add_u64 v[8:9], v[8:9], 0, v[10:11]
	v_mul_hi_u32 v11, v5, v12
	v_mul_lo_u32 v12, v5, v12
	v_add_co_u32_e32 v8, vcc, v8, v12
	v_mul_hi_u32 v10, v5, v13
	s_nop 0
	v_addc_co_u32_e32 v8, vcc, v9, v11, vcc
	v_mov_b32_e32 v9, v4
	s_nop 0
	v_addc_co_u32_e32 v11, vcc, 0, v10, vcc
	v_mul_lo_u32 v10, v5, v13
	v_lshl_add_u64 v[8:9], v[8:9], 0, v[10:11]
	v_add_co_u32_e32 v1, vcc, v1, v8
	v_mul_lo_u32 v10, s2, v1
	s_nop 0
	v_addc_co_u32_e32 v5, vcc, v5, v9, vcc
	v_mul_lo_u32 v8, s2, v5
	v_mul_hi_u32 v9, s2, v1
	v_add_u32_e32 v8, v9, v8
	v_mul_lo_u32 v9, s3, v1
	v_add_u32_e32 v12, v8, v9
	v_mul_hi_u32 v14, v5, v10
	v_mul_lo_u32 v15, v5, v10
	v_mul_hi_u32 v9, v1, v12
	v_mul_lo_u32 v8, v1, v12
	v_mul_hi_u32 v10, v1, v10
	v_mov_b32_e32 v11, v4
	v_lshl_add_u64 v[8:9], v[10:11], 0, v[8:9]
	v_add_co_u32_e32 v8, vcc, v8, v15
	v_mul_hi_u32 v13, v5, v12
	s_nop 0
	v_addc_co_u32_e32 v8, vcc, v9, v14, vcc
	v_mul_lo_u32 v10, v5, v12
	s_nop 0
	v_addc_co_u32_e32 v11, vcc, 0, v13, vcc
	v_mov_b32_e32 v9, v4
	v_lshl_add_u64 v[8:9], v[8:9], 0, v[10:11]
	v_add_co_u32_e32 v1, vcc, v1, v8
	v_mul_hi_u32 v10, v6, v1
	s_nop 0
	v_addc_co_u32_e32 v5, vcc, v5, v9, vcc
	v_mad_u64_u32 v[8:9], s[2:3], v6, v5, 0
	v_mov_b32_e32 v11, v4
	v_lshl_add_u64 v[8:9], v[10:11], 0, v[8:9]
	v_mad_u64_u32 v[12:13], s[2:3], v7, v1, 0
	v_add_co_u32_e32 v1, vcc, v8, v12
	v_mad_u64_u32 v[10:11], s[2:3], v7, v5, 0
	s_nop 0
	v_addc_co_u32_e32 v8, vcc, v9, v13, vcc
	v_mov_b32_e32 v9, v4
	s_nop 0
	v_addc_co_u32_e32 v11, vcc, 0, v11, vcc
	v_lshl_add_u64 v[8:9], v[8:9], 0, v[10:11]
	v_mul_lo_u32 v1, s19, v8
	v_mul_lo_u32 v5, s18, v9
	v_mad_u64_u32 v[10:11], s[2:3], s18, v8, 0
	v_add3_u32 v1, v11, v5, v1
	v_sub_u32_e32 v5, v7, v1
	v_mov_b32_e32 v11, s19
	v_sub_co_u32_e32 v14, vcc, v6, v10
	v_lshl_add_u64 v[12:13], v[8:9], 0, 1
	s_nop 0
	v_subb_co_u32_e64 v5, s[2:3], v5, v11, vcc
	v_subrev_co_u32_e64 v10, s[2:3], s18, v14
	v_subb_co_u32_e32 v1, vcc, v7, v1, vcc
	s_nop 0
	v_subbrev_co_u32_e64 v5, s[2:3], 0, v5, s[2:3]
	v_cmp_le_u32_e64 s[2:3], s19, v5
	v_cmp_le_u32_e32 vcc, s19, v1
	s_nop 0
	v_cndmask_b32_e64 v11, 0, -1, s[2:3]
	v_cmp_le_u32_e64 s[2:3], s18, v10
	s_nop 1
	v_cndmask_b32_e64 v10, 0, -1, s[2:3]
	v_cmp_eq_u32_e64 s[2:3], s19, v5
	s_nop 1
	v_cndmask_b32_e64 v5, v11, v10, s[2:3]
	v_lshl_add_u64 v[10:11], v[8:9], 0, 2
	v_cmp_ne_u32_e64 s[2:3], 0, v5
	s_nop 1
	v_cndmask_b32_e64 v5, v13, v11, s[2:3]
	v_cndmask_b32_e64 v11, 0, -1, vcc
	v_cmp_le_u32_e32 vcc, s18, v14
	s_nop 1
	v_cndmask_b32_e64 v13, 0, -1, vcc
	v_cmp_eq_u32_e32 vcc, s19, v1
	s_nop 1
	v_cndmask_b32_e32 v1, v11, v13, vcc
	v_cmp_ne_u32_e32 vcc, 0, v1
	v_cndmask_b32_e64 v1, v12, v10, s[2:3]
	s_nop 0
	v_cndmask_b32_e32 v9, v9, v5, vcc
	v_cndmask_b32_e32 v8, v8, v1, vcc
.LBB0_4:                                ;   in Loop: Header=BB0_2 Depth=1
	s_andn2_saveexec_b64 s[2:3], s[20:21]
	s_cbranch_execz .LBB0_6
; %bb.5:                                ;   in Loop: Header=BB0_2 Depth=1
	v_cvt_f32_u32_e32 v1, s18
	s_sub_i32 s20, 0, s18
	v_rcp_iflag_f32_e32 v1, v1
	s_nop 0
	v_mul_f32_e32 v1, 0x4f7ffffe, v1
	v_cvt_u32_f32_e32 v1, v1
	v_mul_lo_u32 v5, s20, v1
	v_mul_hi_u32 v5, v1, v5
	v_add_u32_e32 v1, v1, v5
	v_mul_hi_u32 v1, v6, v1
	v_mul_lo_u32 v5, v1, s18
	v_sub_u32_e32 v5, v6, v5
	v_add_u32_e32 v8, 1, v1
	v_subrev_u32_e32 v9, s18, v5
	v_cmp_le_u32_e32 vcc, s18, v5
	s_nop 1
	v_cndmask_b32_e32 v5, v5, v9, vcc
	v_cndmask_b32_e32 v1, v1, v8, vcc
	v_add_u32_e32 v8, 1, v1
	v_cmp_le_u32_e32 vcc, s18, v5
	v_mov_b32_e32 v9, v4
	s_nop 0
	v_cndmask_b32_e32 v8, v1, v8, vcc
.LBB0_6:                                ;   in Loop: Header=BB0_2 Depth=1
	s_or_b64 exec, exec, s[2:3]
	v_mad_u64_u32 v[10:11], s[2:3], v8, s18, 0
	s_load_dwordx2 s[2:3], s[12:13], 0x0
	v_mul_lo_u32 v1, v9, s18
	v_mul_lo_u32 v5, v8, s19
	v_add3_u32 v1, v11, v5, v1
	v_sub_co_u32_e32 v5, vcc, v6, v10
	s_add_u32 s14, s14, 1
	s_nop 0
	v_subb_co_u32_e32 v1, vcc, v7, v1, vcc
	s_addc_u32 s15, s15, 0
	s_waitcnt lgkmcnt(0)
	v_mul_lo_u32 v1, s2, v1
	v_mul_lo_u32 v6, s3, v5
	v_mad_u64_u32 v[2:3], s[2:3], s2, v5, v[2:3]
	s_add_u32 s12, s12, 8
	v_add3_u32 v3, v6, v3, v1
	s_addc_u32 s13, s13, 0
	v_mov_b64_e32 v[6:7], s[6:7]
	s_add_u32 s16, s16, 8
	v_cmp_ge_u64_e32 vcc, s[14:15], v[6:7]
	s_addc_u32 s17, s17, 0
	s_cbranch_vccnz .LBB0_9
; %bb.7:                                ;   in Loop: Header=BB0_2 Depth=1
	v_mov_b64_e32 v[6:7], v[8:9]
	s_branch .LBB0_2
.LBB0_8:
	v_mov_b64_e32 v[8:9], v[6:7]
.LBB0_9:
	s_lshl_b64 s[2:3], s[6:7], 3
	s_add_u32 s2, s10, s2
	s_addc_u32 s3, s11, s3
	s_load_dwordx2 s[6:7], s[2:3], 0x0
	s_load_dwordx2 s[10:11], s[0:1], 0x20
	s_mov_b32 s2, 0x28f5c29
	s_waitcnt lgkmcnt(0)
	v_mul_lo_u32 v1, s6, v9
	v_mul_lo_u32 v4, s7, v8
	v_mad_u64_u32 v[2:3], s[0:1], s6, v8, v[2:3]
	v_add3_u32 v3, v4, v3, v1
	v_mul_hi_u32 v1, v0, s2
	v_mul_u32_u24_e32 v1, 0x64, v1
	v_cmp_gt_u64_e64 s[0:1], s[10:11], v[8:9]
	v_sub_u32_e32 v126, v0, v1
	v_lshl_add_u64 v[124:125], v[2:3], 4, s[8:9]
	s_and_saveexec_b64 s[2:3], s[0:1]
	s_cbranch_execz .LBB0_13
; %bb.10:
	v_mov_b32_e32 v127, 0
	v_lshl_add_u64 v[112:113], v[126:127], 4, v[124:125]
	v_add_co_u32_e32 v24, vcc, 0x1000, v112
	global_load_dwordx4 v[0:3], v[112:113], off
	global_load_dwordx4 v[4:7], v[112:113], off offset:1600
	v_addc_co_u32_e32 v25, vcc, 0, v113, vcc
	v_add_co_u32_e32 v32, vcc, 0x2000, v112
	global_load_dwordx4 v[8:11], v[112:113], off offset:3200
	global_load_dwordx4 v[12:15], v[24:25], off offset:704
	v_addc_co_u32_e32 v33, vcc, 0, v113, vcc
	v_add_co_u32_e32 v48, vcc, 0x3000, v112
	global_load_dwordx4 v[16:19], v[24:25], off offset:2304
	;; [unrolled: 4-line block ×6, first 2 shown]
	global_load_dwordx4 v[52:55], v[66:67], off offset:320
	global_load_dwordx4 v[56:59], v[66:67], off offset:1920
	;; [unrolled: 1-line block ×3, first 2 shown]
	v_addc_co_u32_e32 v97, vcc, 0, v113, vcc
	v_add_co_u32_e32 v98, vcc, 0x8000, v112
	global_load_dwordx4 v[64:67], v[72:73], off offset:1024
	global_load_dwordx4 v[68:71], v[72:73], off offset:2624
	v_addc_co_u32_e32 v99, vcc, 0, v113, vcc
	v_add_co_u32_e32 v104, vcc, 0x9000, v112
	global_load_dwordx4 v[72:75], v[96:97], off offset:128
	global_load_dwordx4 v[76:79], v[96:97], off offset:1728
	;; [unrolled: 4-line block ×3, first 2 shown]
	global_load_dwordx4 v[88:91], v[98:99], off offset:2432
	global_load_dwordx4 v[92:95], v[98:99], off offset:4032
	v_addc_co_u32_e32 v121, vcc, 0, v113, vcc
	v_add_co_u32_e32 v122, vcc, 0xb000, v112
	global_load_dwordx4 v[96:99], v[104:105], off offset:1536
	global_load_dwordx4 v[100:103], v[104:105], off offset:3136
	s_nop 0
	global_load_dwordx4 v[104:107], v[120:121], off offset:640
	global_load_dwordx4 v[108:111], v[120:121], off offset:2240
	v_addc_co_u32_e32 v123, vcc, 0, v113, vcc
	global_load_dwordx4 v[112:115], v[120:121], off offset:3840
	global_load_dwordx4 v[116:119], v[122:123], off offset:1344
	s_movk_i32 s6, 0x63
	v_lshl_add_u32 v120, v126, 4, 0
	v_cmp_eq_u32_e32 vcc, s6, v126
	s_waitcnt vmcnt(29)
	ds_write_b128 v120, v[0:3]
	s_waitcnt vmcnt(28)
	ds_write_b128 v120, v[4:7] offset:1600
	s_waitcnt vmcnt(27)
	ds_write_b128 v120, v[8:11] offset:3200
	;; [unrolled: 2-line block ×29, first 2 shown]
	s_and_saveexec_b64 s[6:7], vcc
	s_cbranch_execz .LBB0_12
; %bb.11:
	v_add_co_u32_e32 v0, vcc, 0xb000, v124
	v_mov_b32_e32 v126, 0x63
	s_nop 0
	v_addc_co_u32_e32 v1, vcc, 0, v125, vcc
	global_load_dwordx4 v[0:3], v[0:1], off offset:2944
	s_waitcnt vmcnt(0)
	ds_write_b128 v127, v[0:3] offset:48000
.LBB0_12:
	s_or_b64 exec, exec, s[6:7]
.LBB0_13:
	s_or_b64 exec, exec, s[2:3]
	v_lshlrev_b32_e32 v0, 4, v126
	v_add_u32_e32 v172, 0, v0
	s_waitcnt lgkmcnt(0)
	s_barrier
	v_sub_u32_e32 v30, 0, v0
	ds_read_b64 v[2:3], v172
	ds_read_b64 v[4:5], v30 offset:48000
	s_add_u32 s2, s4, 0xbae0
	s_addc_u32 s3, s5, 0
	v_cmp_ne_u32_e32 vcc, 0, v126
                                        ; implicit-def: $vgpr0_vgpr1
	s_waitcnt lgkmcnt(0)
	v_add_f64 v[16:17], v[2:3], v[4:5]
	v_add_f64 v[18:19], v[2:3], -v[4:5]
	s_and_saveexec_b64 s[6:7], vcc
	s_xor_b64 s[6:7], exec, s[6:7]
	s_cbranch_execz .LBB0_15
; %bb.14:
	v_mov_b32_e32 v127, 0
	v_lshl_add_u64 v[0:1], v[126:127], 4, s[2:3]
	global_load_dwordx4 v[6:9], v[0:1], off
	ds_read_b64 v[0:1], v30 offset:48008
	ds_read_b64 v[10:11], v172 offset:8
	v_add_f64 v[12:13], v[2:3], v[4:5]
	v_add_f64 v[4:5], v[2:3], -v[4:5]
	s_waitcnt lgkmcnt(0)
	v_add_f64 v[14:15], v[0:1], v[10:11]
	v_add_f64 v[2:3], v[10:11], -v[0:1]
	s_waitcnt vmcnt(0)
	v_fma_f64 v[18:19], v[14:15], v[8:9], v[2:3]
	v_fma_f64 v[0:1], -v[4:5], v[8:9], v[12:13]
	v_fma_f64 v[2:3], v[14:15], v[8:9], -v[2:3]
	v_fma_f64 v[10:11], v[4:5], v[8:9], v[12:13]
	v_fmac_f64_e32 v[0:1], v[14:15], v[6:7]
	v_fmac_f64_e32 v[2:3], v[4:5], v[6:7]
	v_fma_f64 v[16:17], -v[14:15], v[6:7], v[10:11]
	v_fmac_f64_e32 v[18:19], v[4:5], v[6:7]
	ds_write_b128 v30, v[0:3] offset:48000
	v_mov_b64_e32 v[0:1], v[126:127]
.LBB0_15:
	s_andn2_saveexec_b64 s[6:7], s[6:7]
	s_cbranch_execz .LBB0_17
; %bb.16:
	v_mov_b32_e32 v4, 0
	ds_read_b128 v[0:3], v4 offset:24000
	s_waitcnt lgkmcnt(0)
	v_add_f64 v[0:1], v[0:1], v[0:1]
	v_mul_f64 v[2:3], v[2:3], -2.0
	ds_write_b128 v4, v[0:3] offset:24000
	v_mov_b64_e32 v[0:1], 0
.LBB0_17:
	s_or_b64 exec, exec, s[6:7]
	v_lshl_add_u64 v[28:29], v[0:1], 4, s[2:3]
	global_load_dwordx4 v[0:3], v[28:29], off offset:1600
	v_add_u32_e32 v128, 0xc8, v126
	v_mov_b32_e32 v129, 0
	v_lshl_add_u64 v[4:5], v[128:129], 4, s[2:3]
	global_load_dwordx4 v[4:7], v[4:5], off
	v_add_u32_e32 v136, 0x12c, v126
	v_mov_b32_e32 v137, v129
	v_lshl_add_u64 v[8:9], v[136:137], 4, s[2:3]
	global_load_dwordx4 v[12:15], v[8:9], off
	v_add_u32_e32 v134, 0x190, v126
	v_mov_b32_e32 v135, v129
	v_lshl_add_u64 v[8:9], v[134:135], 4, s[2:3]
	global_load_dwordx4 v[8:11], v[8:9], off
	v_add_u32_e32 v132, 0x1f4, v126
	v_mov_b32_e32 v133, v129
	ds_write_b128 v172, v[16:19]
	v_lshl_add_u64 v[20:21], v[132:133], 4, s[2:3]
	ds_read_b128 v[16:19], v172 offset:1600
	ds_read_b128 v[24:27], v30 offset:46400
	global_load_dwordx4 v[20:23], v[20:21], off
	v_add_u32_e32 v130, 0x258, v126
	v_mov_b32_e32 v131, v129
	v_lshl_add_u32 v127, v128, 4, 0
	s_waitcnt lgkmcnt(0)
	v_add_f64 v[32:33], v[16:17], v[24:25]
	v_add_f64 v[34:35], v[26:27], v[18:19]
	v_add_f64 v[36:37], v[16:17], -v[24:25]
	v_add_f64 v[16:17], v[18:19], -v[26:27]
	v_add_u32_e32 v122, 0x2bc, v126
	v_mov_b32_e32 v123, v129
	v_lshl_add_u32 v173, v136, 4, 0
	s_movk_i32 s6, 0x3000
	v_lshl_add_u32 v133, v134, 4, 0
	v_lshl_add_u32 v174, v130, 4, 0
	s_movk_i32 s24, 0x4000
	s_mov_b32 s8, 0x134454ff
	s_mov_b32 s9, 0xbfee6f0e
	;; [unrolled: 1-line block ×13, first 2 shown]
	s_movk_i32 s20, 0xcd
	v_add_u16_e32 v135, 0x64, v126
	s_mov_b32 s25, 0xcccd
	s_mov_b32 s23, 0x3febb67a
	v_mov_b32_e32 v175, 4
	s_mov_b32 s26, 0x5040100
	s_waitcnt vmcnt(4)
	v_fma_f64 v[38:39], v[36:37], v[2:3], v[32:33]
	v_fma_f64 v[18:19], v[34:35], v[2:3], v[16:17]
	v_fma_f64 v[24:25], -v[36:37], v[2:3], v[32:33]
	v_fma_f64 v[26:27], v[34:35], v[2:3], -v[16:17]
	v_fma_f64 v[16:17], -v[34:35], v[0:1], v[38:39]
	v_fmac_f64_e32 v[18:19], v[36:37], v[0:1]
	v_fmac_f64_e32 v[24:25], v[34:35], v[0:1]
	;; [unrolled: 1-line block ×3, first 2 shown]
	ds_write_b128 v172, v[16:19] offset:1600
	ds_write_b128 v30, v[24:27] offset:46400
	v_lshl_add_u64 v[24:25], v[130:131], 4, s[2:3]
	ds_read_b128 v[0:3], v127
	ds_read_b128 v[16:19], v30 offset:44800
	global_load_dwordx4 v[24:27], v[24:25], off
	v_lshl_add_u32 v131, v132, 4, 0
	s_waitcnt lgkmcnt(0)
	v_add_f64 v[32:33], v[0:1], v[16:17]
	v_add_f64 v[34:35], v[18:19], v[2:3]
	v_add_f64 v[36:37], v[0:1], -v[16:17]
	v_add_f64 v[0:1], v[2:3], -v[18:19]
	s_waitcnt vmcnt(4)
	v_fma_f64 v[38:39], v[36:37], v[6:7], v[32:33]
	v_fma_f64 v[2:3], v[34:35], v[6:7], v[0:1]
	v_fma_f64 v[16:17], -v[36:37], v[6:7], v[32:33]
	v_fma_f64 v[18:19], v[34:35], v[6:7], -v[0:1]
	v_fma_f64 v[0:1], -v[34:35], v[4:5], v[38:39]
	v_fmac_f64_e32 v[2:3], v[36:37], v[4:5]
	v_fmac_f64_e32 v[16:17], v[34:35], v[4:5]
	;; [unrolled: 1-line block ×3, first 2 shown]
	ds_write_b128 v127, v[0:3]
	ds_write_b128 v30, v[16:19] offset:44800
	v_lshl_add_u64 v[16:17], v[122:123], 4, s[2:3]
	ds_read_b128 v[0:3], v173
	ds_read_b128 v[4:7], v30 offset:43200
	global_load_dwordx4 v[16:19], v[16:17], off
	v_lshl_add_u32 v123, v122, 4, 0
	s_movk_i32 s2, 0x5000
	s_mov_b32 s3, 0x3fe2cf23
	s_waitcnt lgkmcnt(0)
	v_add_f64 v[32:33], v[0:1], v[4:5]
	v_add_f64 v[34:35], v[6:7], v[2:3]
	v_add_f64 v[36:37], v[0:1], -v[4:5]
	v_add_f64 v[0:1], v[2:3], -v[6:7]
	s_waitcnt vmcnt(4)
	v_fma_f64 v[38:39], v[36:37], v[14:15], v[32:33]
	v_fma_f64 v[2:3], v[34:35], v[14:15], v[0:1]
	v_fma_f64 v[4:5], -v[36:37], v[14:15], v[32:33]
	v_fma_f64 v[6:7], v[34:35], v[14:15], -v[0:1]
	v_fma_f64 v[0:1], -v[34:35], v[12:13], v[38:39]
	v_fmac_f64_e32 v[2:3], v[36:37], v[12:13]
	v_fmac_f64_e32 v[4:5], v[34:35], v[12:13]
	;; [unrolled: 1-line block ×3, first 2 shown]
	v_add_co_u32_e32 v12, vcc, s6, v28
	ds_write_b128 v173, v[0:3]
	ds_write_b128 v30, v[4:7] offset:43200
	v_addc_co_u32_e32 v13, vcc, 0, v29, vcc
	ds_read_b128 v[4:7], v133
	ds_read_b128 v[32:35], v30 offset:41600
	global_load_dwordx4 v[0:3], v[12:13], off offset:512
	s_mov_b32 s6, s8
	s_waitcnt lgkmcnt(0)
	v_add_f64 v[14:15], v[4:5], v[32:33]
	v_add_f64 v[36:37], v[34:35], v[6:7]
	v_add_f64 v[38:39], v[4:5], -v[32:33]
	v_add_f64 v[4:5], v[6:7], -v[34:35]
	s_waitcnt vmcnt(4)
	v_fma_f64 v[40:41], v[38:39], v[10:11], v[14:15]
	v_fma_f64 v[6:7], v[36:37], v[10:11], v[4:5]
	v_fma_f64 v[32:33], -v[38:39], v[10:11], v[14:15]
	v_fma_f64 v[34:35], v[36:37], v[10:11], -v[4:5]
	v_fma_f64 v[4:5], -v[36:37], v[8:9], v[40:41]
	v_fmac_f64_e32 v[6:7], v[38:39], v[8:9]
	v_fmac_f64_e32 v[32:33], v[36:37], v[8:9]
	;; [unrolled: 1-line block ×3, first 2 shown]
	ds_write_b128 v133, v[4:7]
	ds_write_b128 v30, v[32:35] offset:41600
	ds_read_b128 v[8:11], v131
	ds_read_b128 v[32:35], v30 offset:40000
	global_load_dwordx4 v[4:7], v[12:13], off offset:2112
	s_waitcnt lgkmcnt(0)
	v_add_f64 v[14:15], v[8:9], v[32:33]
	v_add_f64 v[36:37], v[34:35], v[10:11]
	v_add_f64 v[38:39], v[8:9], -v[32:33]
	v_add_f64 v[8:9], v[10:11], -v[34:35]
	s_waitcnt vmcnt(4)
	v_fma_f64 v[40:41], v[38:39], v[22:23], v[14:15]
	v_fma_f64 v[10:11], v[36:37], v[22:23], v[8:9]
	v_fma_f64 v[32:33], -v[38:39], v[22:23], v[14:15]
	v_fma_f64 v[34:35], v[36:37], v[22:23], -v[8:9]
	v_fma_f64 v[8:9], -v[36:37], v[20:21], v[40:41]
	v_fmac_f64_e32 v[10:11], v[38:39], v[20:21]
	v_fmac_f64_e32 v[32:33], v[36:37], v[20:21]
	;; [unrolled: 1-line block ×3, first 2 shown]
	ds_write_b128 v131, v[8:11]
	ds_write_b128 v30, v[32:35] offset:40000
	ds_read_b128 v[8:11], v174
	ds_read_b128 v[20:23], v30 offset:38400
	s_waitcnt lgkmcnt(0)
	v_add_f64 v[14:15], v[8:9], v[20:21]
	v_add_f64 v[32:33], v[22:23], v[10:11]
	v_add_f64 v[20:21], v[8:9], -v[20:21]
	v_add_f64 v[22:23], v[10:11], -v[22:23]
	s_waitcnt vmcnt(3)
	v_fma_f64 v[8:9], v[20:21], v[26:27], v[14:15]
	v_fma_f64 v[10:11], v[32:33], v[26:27], v[22:23]
	v_fma_f64 v[8:9], -v[32:33], v[24:25], v[8:9]
	v_fmac_f64_e32 v[10:11], v[20:21], v[24:25]
	ds_write_b128 v174, v[8:11]
	v_fma_f64 v[8:9], -v[20:21], v[26:27], v[14:15]
	v_fma_f64 v[10:11], v[32:33], v[26:27], -v[22:23]
	v_fmac_f64_e32 v[8:9], v[32:33], v[24:25]
	v_fmac_f64_e32 v[10:11], v[20:21], v[24:25]
	ds_write_b128 v30, v[8:11] offset:38400
	ds_read_b128 v[20:23], v123
	ds_read_b128 v[24:27], v30 offset:36800
	global_load_dwordx4 v[8:11], v[12:13], off offset:3712
	s_waitcnt lgkmcnt(0)
	v_add_f64 v[34:35], v[26:27], v[22:23]
	v_add_f64 v[22:23], v[22:23], -v[26:27]
	v_add_f64 v[32:33], v[20:21], v[24:25]
	v_add_f64 v[24:25], v[20:21], -v[24:25]
	s_waitcnt vmcnt(3)
	v_fma_f64 v[14:15], v[34:35], v[18:19], v[22:23]
	v_fma_f64 v[22:23], v[34:35], v[18:19], -v[22:23]
	v_fma_f64 v[12:13], v[24:25], v[18:19], v[32:33]
	v_fmac_f64_e32 v[14:15], v[24:25], v[16:17]
	v_fma_f64 v[20:21], -v[24:25], v[18:19], v[32:33]
	v_fmac_f64_e32 v[22:23], v[24:25], v[16:17]
	v_add_co_u32_e32 v24, vcc, s24, v28
	v_fma_f64 v[12:13], -v[34:35], v[16:17], v[12:13]
	s_nop 0
	v_addc_co_u32_e32 v25, vcc, 0, v29, vcc
	ds_write_b128 v123, v[12:15]
	global_load_dwordx4 v[12:15], v[24:25], off offset:1216
	v_fmac_f64_e32 v[20:21], v[34:35], v[16:17]
	ds_write_b128 v30, v[20:23] offset:36800
	ds_read_b128 v[16:19], v172 offset:12800
	ds_read_b128 v[20:23], v30 offset:35200
	v_add_co_u32_e32 v28, vcc, s2, v28
	s_mov_b32 s2, s10
	s_nop 0
	v_addc_co_u32_e32 v29, vcc, 0, v29, vcc
	s_waitcnt lgkmcnt(0)
	v_add_f64 v[26:27], v[16:17], v[20:21]
	v_add_f64 v[32:33], v[22:23], v[18:19]
	v_add_f64 v[34:35], v[16:17], -v[20:21]
	v_add_f64 v[22:23], v[18:19], -v[22:23]
	s_waitcnt vmcnt(3)
	v_fma_f64 v[16:17], v[34:35], v[2:3], v[26:27]
	v_fma_f64 v[18:19], v[32:33], v[2:3], v[22:23]
	v_fma_f64 v[16:17], -v[32:33], v[0:1], v[16:17]
	v_fmac_f64_e32 v[18:19], v[34:35], v[0:1]
	ds_write_b128 v172, v[16:19] offset:12800
	global_load_dwordx4 v[16:19], v[24:25], off offset:2816
	v_fma_f64 v[20:21], -v[34:35], v[2:3], v[26:27]
	v_fma_f64 v[22:23], v[32:33], v[2:3], -v[22:23]
	v_fmac_f64_e32 v[20:21], v[32:33], v[0:1]
	v_fmac_f64_e32 v[22:23], v[34:35], v[0:1]
	ds_write_b128 v30, v[20:23] offset:35200
	ds_read_b128 v[0:3], v172 offset:14400
	ds_read_b128 v[20:23], v30 offset:33600
	s_waitcnt lgkmcnt(0)
	v_add_f64 v[24:25], v[0:1], v[20:21]
	v_add_f64 v[26:27], v[22:23], v[2:3]
	v_add_f64 v[32:33], v[0:1], -v[20:21]
	v_add_f64 v[34:35], v[2:3], -v[22:23]
	global_load_dwordx4 v[20:23], v[28:29], off offset:320
	s_waitcnt vmcnt(4)
	v_fma_f64 v[0:1], v[32:33], v[6:7], v[24:25]
	v_fma_f64 v[2:3], v[26:27], v[6:7], v[34:35]
	v_fma_f64 v[0:1], -v[26:27], v[4:5], v[0:1]
	v_fmac_f64_e32 v[2:3], v[32:33], v[4:5]
	ds_write_b128 v172, v[0:3] offset:14400
	v_fma_f64 v[0:1], -v[32:33], v[6:7], v[24:25]
	v_fma_f64 v[2:3], v[26:27], v[6:7], -v[34:35]
	v_fmac_f64_e32 v[0:1], v[26:27], v[4:5]
	v_fmac_f64_e32 v[2:3], v[32:33], v[4:5]
	ds_write_b128 v30, v[0:3] offset:33600
	ds_read_b128 v[0:3], v172 offset:16000
	ds_read_b128 v[4:7], v30 offset:32000
	s_waitcnt lgkmcnt(0)
	v_add_f64 v[24:25], v[0:1], v[4:5]
	v_add_f64 v[26:27], v[6:7], v[2:3]
	v_add_f64 v[32:33], v[0:1], -v[4:5]
	v_add_f64 v[34:35], v[2:3], -v[6:7]
	global_load_dwordx4 v[0:3], v[28:29], off offset:1920
	s_waitcnt vmcnt(4)
	v_fma_f64 v[4:5], v[32:33], v[10:11], v[24:25]
	v_fma_f64 v[6:7], v[26:27], v[10:11], v[34:35]
	v_fma_f64 v[4:5], -v[26:27], v[8:9], v[4:5]
	v_fmac_f64_e32 v[6:7], v[32:33], v[8:9]
	ds_write_b128 v172, v[4:7] offset:16000
	v_fma_f64 v[4:5], -v[32:33], v[10:11], v[24:25]
	v_fma_f64 v[6:7], v[26:27], v[10:11], -v[34:35]
	v_fmac_f64_e32 v[4:5], v[26:27], v[8:9]
	v_fmac_f64_e32 v[6:7], v[32:33], v[8:9]
	ds_write_b128 v30, v[4:7] offset:32000
	ds_read_b128 v[4:7], v172 offset:17600
	ds_read_b128 v[8:11], v30 offset:30400
	s_waitcnt lgkmcnt(0)
	v_add_f64 v[24:25], v[4:5], v[8:9]
	v_add_f64 v[26:27], v[10:11], v[6:7]
	v_add_f64 v[8:9], v[4:5], -v[8:9]
	v_add_f64 v[10:11], v[6:7], -v[10:11]
	s_waitcnt vmcnt(3)
	v_fma_f64 v[4:5], v[8:9], v[14:15], v[24:25]
	v_fma_f64 v[6:7], v[26:27], v[14:15], v[10:11]
	v_fma_f64 v[4:5], -v[26:27], v[12:13], v[4:5]
	v_fmac_f64_e32 v[6:7], v[8:9], v[12:13]
	ds_write_b128 v172, v[4:7] offset:17600
	v_fma_f64 v[4:5], -v[8:9], v[14:15], v[24:25]
	v_fma_f64 v[6:7], v[26:27], v[14:15], -v[10:11]
	v_fmac_f64_e32 v[4:5], v[26:27], v[12:13]
	v_fmac_f64_e32 v[6:7], v[8:9], v[12:13]
	ds_write_b128 v30, v[4:7] offset:30400
	ds_read_b128 v[4:7], v172 offset:19200
	ds_read_b128 v[8:11], v30 offset:28800
	s_waitcnt lgkmcnt(0)
	v_add_f64 v[12:13], v[4:5], v[8:9]
	v_add_f64 v[14:15], v[10:11], v[6:7]
	v_add_f64 v[8:9], v[4:5], -v[8:9]
	v_add_f64 v[10:11], v[6:7], -v[10:11]
	s_waitcnt vmcnt(2)
	v_fma_f64 v[4:5], v[8:9], v[18:19], v[12:13]
	v_fma_f64 v[6:7], v[14:15], v[18:19], v[10:11]
	v_fma_f64 v[4:5], -v[14:15], v[16:17], v[4:5]
	v_fmac_f64_e32 v[6:7], v[8:9], v[16:17]
	ds_write_b128 v172, v[4:7] offset:19200
	v_fma_f64 v[4:5], -v[8:9], v[18:19], v[12:13]
	v_fma_f64 v[6:7], v[14:15], v[18:19], -v[10:11]
	v_fmac_f64_e32 v[4:5], v[14:15], v[16:17]
	v_fmac_f64_e32 v[6:7], v[8:9], v[16:17]
	ds_write_b128 v30, v[4:7] offset:28800
	ds_read_b128 v[4:7], v172 offset:20800
	ds_read_b128 v[8:11], v30 offset:27200
	s_waitcnt lgkmcnt(0)
	v_add_f64 v[12:13], v[4:5], v[8:9]
	v_add_f64 v[14:15], v[10:11], v[6:7]
	v_add_f64 v[8:9], v[4:5], -v[8:9]
	v_add_f64 v[10:11], v[6:7], -v[10:11]
	s_waitcnt vmcnt(1)
	v_fma_f64 v[4:5], v[8:9], v[22:23], v[12:13]
	v_fma_f64 v[6:7], v[14:15], v[22:23], v[10:11]
	v_fma_f64 v[4:5], -v[14:15], v[20:21], v[4:5]
	v_fmac_f64_e32 v[6:7], v[8:9], v[20:21]
	ds_write_b128 v172, v[4:7] offset:20800
	v_fma_f64 v[4:5], -v[8:9], v[22:23], v[12:13]
	v_fma_f64 v[6:7], v[14:15], v[22:23], -v[10:11]
	v_fmac_f64_e32 v[4:5], v[14:15], v[20:21]
	v_fmac_f64_e32 v[6:7], v[8:9], v[20:21]
	ds_write_b128 v30, v[4:7] offset:27200
	ds_read_b128 v[4:7], v172 offset:22400
	ds_read_b128 v[8:11], v30 offset:25600
	s_waitcnt lgkmcnt(0)
	v_add_f64 v[12:13], v[4:5], v[8:9]
	v_add_f64 v[14:15], v[10:11], v[6:7]
	v_add_f64 v[8:9], v[4:5], -v[8:9]
	v_add_f64 v[10:11], v[6:7], -v[10:11]
	s_waitcnt vmcnt(0)
	v_fma_f64 v[4:5], v[8:9], v[2:3], v[12:13]
	v_fma_f64 v[6:7], v[14:15], v[2:3], v[10:11]
	v_fma_f64 v[4:5], -v[14:15], v[0:1], v[4:5]
	v_fmac_f64_e32 v[6:7], v[8:9], v[0:1]
	ds_write_b128 v172, v[4:7] offset:22400
	v_fma_f64 v[4:5], -v[8:9], v[2:3], v[12:13]
	v_fma_f64 v[6:7], v[14:15], v[2:3], -v[10:11]
	v_fmac_f64_e32 v[4:5], v[14:15], v[0:1]
	v_fmac_f64_e32 v[6:7], v[8:9], v[0:1]
	ds_write_b128 v30, v[4:7] offset:25600
	s_waitcnt lgkmcnt(0)
	s_barrier
	s_barrier
	ds_read_b128 v[56:59], v172
	ds_read_b128 v[22:25], v172 offset:4800
	ds_read_b128 v[94:97], v172 offset:6400
	;; [unrolled: 1-line block ×29, first 2 shown]
	s_waitcnt lgkmcnt(14)
	v_add_f64 v[20:21], v[56:57], v[140:141]
	s_waitcnt lgkmcnt(12)
	v_add_f64 v[20:21], v[20:21], v[144:145]
	s_waitcnt lgkmcnt(8)
	v_add_f64 v[20:21], v[20:21], v[148:149]
	s_waitcnt lgkmcnt(4)
	v_add_f64 v[48:49], v[20:21], v[152:153]
	v_add_f64 v[20:21], v[144:145], v[148:149]
	v_fma_f64 v[50:51], -0.5, v[20:21], v[56:57]
	v_add_f64 v[20:21], v[142:143], -v[154:155]
	v_fma_f64 v[54:55], s[8:9], v[20:21], v[50:51]
	v_add_f64 v[26:27], v[146:147], -v[150:151]
	v_add_f64 v[52:53], v[140:141], -v[144:145]
	v_add_f64 v[60:61], v[152:153], -v[148:149]
	v_fmac_f64_e32 v[50:51], s[6:7], v[20:21]
	v_fmac_f64_e32 v[54:55], s[10:11], v[26:27]
	v_add_f64 v[52:53], v[52:53], v[60:61]
	v_fmac_f64_e32 v[50:51], s[2:3], v[26:27]
	v_fmac_f64_e32 v[54:55], s[12:13], v[52:53]
	;; [unrolled: 1-line block ×3, first 2 shown]
	v_add_f64 v[52:53], v[140:141], v[152:153]
	v_fmac_f64_e32 v[56:57], -0.5, v[52:53]
	v_fma_f64 v[60:61], s[6:7], v[26:27], v[56:57]
	v_fmac_f64_e32 v[56:57], s[8:9], v[26:27]
	v_fmac_f64_e32 v[60:61], s[10:11], v[20:21]
	v_fmac_f64_e32 v[56:57], s[2:3], v[20:21]
	v_add_f64 v[20:21], v[58:59], v[142:143]
	v_add_f64 v[20:21], v[20:21], v[146:147]
	v_add_f64 v[52:53], v[144:145], -v[140:141]
	v_add_f64 v[62:63], v[148:149], -v[152:153]
	v_add_f64 v[20:21], v[20:21], v[150:151]
	v_add_f64 v[52:53], v[52:53], v[62:63]
	;; [unrolled: 1-line block ×4, first 2 shown]
	v_fma_f64 v[92:93], -0.5, v[20:21], v[58:59]
	v_add_f64 v[20:21], v[140:141], -v[152:153]
	v_fmac_f64_e32 v[60:61], s[12:13], v[52:53]
	v_fmac_f64_e32 v[56:57], s[12:13], v[52:53]
	v_fma_f64 v[138:139], s[6:7], v[20:21], v[92:93]
	v_add_f64 v[26:27], v[144:145], -v[148:149]
	v_add_f64 v[52:53], v[142:143], -v[146:147]
	;; [unrolled: 1-line block ×3, first 2 shown]
	v_fmac_f64_e32 v[92:93], s[8:9], v[20:21]
	v_fmac_f64_e32 v[138:139], s[2:3], v[26:27]
	v_add_f64 v[52:53], v[52:53], v[140:141]
	v_fmac_f64_e32 v[92:93], s[10:11], v[26:27]
	v_fmac_f64_e32 v[138:139], s[12:13], v[52:53]
	;; [unrolled: 1-line block ×3, first 2 shown]
	v_add_f64 v[52:53], v[142:143], v[154:155]
	v_fmac_f64_e32 v[58:59], -0.5, v[52:53]
	v_fma_f64 v[140:141], s[8:9], v[26:27], v[58:59]
	v_fmac_f64_e32 v[58:59], s[6:7], v[26:27]
	v_fmac_f64_e32 v[140:141], s[2:3], v[20:21]
	;; [unrolled: 1-line block ×3, first 2 shown]
	v_add_f64 v[20:21], v[22:23], v[8:9]
	v_add_f64 v[52:53], v[146:147], -v[142:143]
	v_add_f64 v[142:143], v[150:151], -v[154:155]
	v_add_f64 v[20:21], v[20:21], v[12:13]
	v_add_f64 v[52:53], v[52:53], v[142:143]
	;; [unrolled: 1-line block ×3, first 2 shown]
	v_fmac_f64_e32 v[140:141], s[12:13], v[52:53]
	v_fmac_f64_e32 v[58:59], s[12:13], v[52:53]
	v_add_f64 v[52:53], v[20:21], v[44:45]
	v_add_f64 v[20:21], v[12:13], v[16:17]
	v_fma_f64 v[26:27], -0.5, v[20:21], v[22:23]
	v_add_f64 v[20:21], v[10:11], -v[46:47]
	v_fma_f64 v[144:145], s[8:9], v[20:21], v[26:27]
	v_add_f64 v[142:143], v[14:15], -v[18:19]
	v_add_f64 v[146:147], v[8:9], -v[12:13]
	;; [unrolled: 1-line block ×3, first 2 shown]
	v_fmac_f64_e32 v[26:27], s[6:7], v[20:21]
	v_fmac_f64_e32 v[144:145], s[10:11], v[142:143]
	v_add_f64 v[146:147], v[146:147], v[148:149]
	v_fmac_f64_e32 v[26:27], s[2:3], v[142:143]
	v_fmac_f64_e32 v[144:145], s[12:13], v[146:147]
	;; [unrolled: 1-line block ×3, first 2 shown]
	v_add_f64 v[146:147], v[8:9], v[44:45]
	v_fmac_f64_e32 v[22:23], -0.5, v[146:147]
	v_fma_f64 v[146:147], s[6:7], v[142:143], v[22:23]
	v_fmac_f64_e32 v[22:23], s[8:9], v[142:143]
	v_fmac_f64_e32 v[146:147], s[10:11], v[20:21]
	;; [unrolled: 1-line block ×3, first 2 shown]
	v_add_f64 v[20:21], v[24:25], v[10:11]
	v_add_f64 v[20:21], v[20:21], v[14:15]
	v_add_f64 v[148:149], v[12:13], -v[8:9]
	v_add_f64 v[150:151], v[16:17], -v[44:45]
	v_add_f64 v[20:21], v[20:21], v[18:19]
	v_add_f64 v[148:149], v[148:149], v[150:151]
	;; [unrolled: 1-line block ×4, first 2 shown]
	v_fmac_f64_e32 v[146:147], s[12:13], v[148:149]
	v_fmac_f64_e32 v[22:23], s[12:13], v[148:149]
	v_fma_f64 v[148:149], -0.5, v[20:21], v[24:25]
	v_add_f64 v[8:9], v[8:9], -v[44:45]
	v_fma_f64 v[44:45], s[6:7], v[8:9], v[148:149]
	v_add_f64 v[12:13], v[12:13], -v[16:17]
	v_add_f64 v[16:17], v[10:11], -v[14:15]
	;; [unrolled: 1-line block ×3, first 2 shown]
	v_fmac_f64_e32 v[148:149], s[8:9], v[8:9]
	v_fmac_f64_e32 v[44:45], s[2:3], v[12:13]
	v_add_f64 v[16:17], v[16:17], v[20:21]
	v_fmac_f64_e32 v[148:149], s[10:11], v[12:13]
	v_fmac_f64_e32 v[44:45], s[12:13], v[16:17]
	;; [unrolled: 1-line block ×3, first 2 shown]
	v_add_f64 v[16:17], v[10:11], v[46:47]
	v_fmac_f64_e32 v[24:25], -0.5, v[16:17]
	v_fma_f64 v[150:151], s[8:9], v[12:13], v[24:25]
	v_add_f64 v[10:11], v[14:15], -v[10:11]
	v_add_f64 v[14:15], v[18:19], -v[46:47]
	v_fmac_f64_e32 v[150:151], s[2:3], v[8:9]
	v_add_f64 v[10:11], v[10:11], v[14:15]
	v_fmac_f64_e32 v[24:25], s[6:7], v[12:13]
	v_fmac_f64_e32 v[150:151], s[12:13], v[10:11]
	;; [unrolled: 1-line block ×4, first 2 shown]
	v_mul_f64 v[152:153], v[150:151], s[8:9]
	v_mul_f64 v[150:151], v[150:151], s[12:13]
	;; [unrolled: 1-line block ×3, first 2 shown]
	v_fmac_f64_e32 v[152:153], s[12:13], v[146:147]
	v_mul_f64 v[156:157], v[148:149], s[10:11]
	v_fmac_f64_e32 v[150:151], s[6:7], v[146:147]
	v_mul_f64 v[146:147], v[24:25], s[16:17]
	v_mul_f64 v[148:149], v[148:149], s[14:15]
	v_fmac_f64_e32 v[46:47], s[18:19], v[144:145]
	v_mul_f64 v[154:155], v[24:25], s[8:9]
	v_fmac_f64_e32 v[146:147], s[6:7], v[22:23]
	v_fmac_f64_e32 v[148:149], s[2:3], v[26:27]
	v_add_f64 v[16:17], v[48:49], v[52:53]
	v_add_f64 v[12:13], v[54:55], v[46:47]
	v_fmac_f64_e32 v[154:155], s[16:17], v[22:23]
	v_fmac_f64_e32 v[156:157], s[14:15], v[26:27]
	v_add_f64 v[18:19], v[62:63], v[142:143]
	v_add_f64 v[22:23], v[58:59], v[146:147]
	;; [unrolled: 1-line block ×3, first 2 shown]
	v_add_f64 v[52:53], v[48:49], -v[52:53]
	v_add_f64 v[48:49], v[54:55], -v[46:47]
	;; [unrolled: 1-line block ×5, first 2 shown]
	v_add_f64 v[92:93], v[80:81], v[106:107]
	v_add_f64 v[92:93], v[92:93], v[110:111]
	v_mul_f64 v[144:145], v[144:145], s[2:3]
	v_add_f64 v[92:93], v[92:93], v[114:115]
	v_fmac_f64_e32 v[144:145], s[18:19], v[44:45]
	s_waitcnt lgkmcnt(2)
	v_add_f64 v[142:143], v[92:93], v[118:119]
	v_add_f64 v[92:93], v[110:111], v[114:115]
	;; [unrolled: 1-line block ×6, first 2 shown]
	v_add_f64 v[44:45], v[60:61], -v[152:153]
	v_add_f64 v[60:61], v[56:57], -v[154:155]
	;; [unrolled: 1-line block ×4, first 2 shown]
	v_fma_f64 v[138:139], -0.5, v[92:93], v[80:81]
	v_add_f64 v[92:93], v[108:109], -v[120:121]
	v_add_f64 v[10:11], v[140:141], v[150:151]
	v_add_f64 v[46:47], v[140:141], -v[150:151]
	v_fma_f64 v[146:147], s[8:9], v[92:93], v[138:139]
	v_add_f64 v[140:141], v[112:113], -v[116:117]
	v_add_f64 v[144:145], v[106:107], -v[110:111]
	;; [unrolled: 1-line block ×3, first 2 shown]
	v_fmac_f64_e32 v[138:139], s[6:7], v[92:93]
	v_fmac_f64_e32 v[146:147], s[10:11], v[140:141]
	v_add_f64 v[144:145], v[144:145], v[148:149]
	v_fmac_f64_e32 v[138:139], s[2:3], v[140:141]
	v_fmac_f64_e32 v[146:147], s[12:13], v[144:145]
	;; [unrolled: 1-line block ×3, first 2 shown]
	v_add_f64 v[144:145], v[106:107], v[118:119]
	v_fmac_f64_e32 v[80:81], -0.5, v[144:145]
	v_fma_f64 v[150:151], s[6:7], v[140:141], v[80:81]
	v_fmac_f64_e32 v[80:81], s[8:9], v[140:141]
	v_fmac_f64_e32 v[150:151], s[10:11], v[92:93]
	;; [unrolled: 1-line block ×3, first 2 shown]
	v_add_f64 v[92:93], v[82:83], v[108:109]
	v_add_f64 v[144:145], v[110:111], -v[106:107]
	v_add_f64 v[148:149], v[114:115], -v[118:119]
	v_add_f64 v[92:93], v[92:93], v[112:113]
	v_add_f64 v[144:145], v[144:145], v[148:149]
	;; [unrolled: 1-line block ×3, first 2 shown]
	v_fmac_f64_e32 v[150:151], s[12:13], v[144:145]
	v_fmac_f64_e32 v[80:81], s[12:13], v[144:145]
	v_add_f64 v[144:145], v[92:93], v[120:121]
	v_add_f64 v[92:93], v[112:113], v[116:117]
	v_fma_f64 v[140:141], -0.5, v[92:93], v[82:83]
	v_add_f64 v[92:93], v[106:107], -v[118:119]
	v_fma_f64 v[148:149], s[6:7], v[92:93], v[140:141]
	v_add_f64 v[106:107], v[110:111], -v[114:115]
	v_add_f64 v[110:111], v[108:109], -v[112:113]
	v_add_f64 v[114:115], v[120:121], -v[116:117]
	v_fmac_f64_e32 v[140:141], s[8:9], v[92:93]
	v_fmac_f64_e32 v[148:149], s[2:3], v[106:107]
	v_add_f64 v[110:111], v[110:111], v[114:115]
	v_fmac_f64_e32 v[140:141], s[10:11], v[106:107]
	v_fmac_f64_e32 v[148:149], s[12:13], v[110:111]
	;; [unrolled: 1-line block ×3, first 2 shown]
	v_add_f64 v[110:111], v[108:109], v[120:121]
	v_fmac_f64_e32 v[82:83], -0.5, v[110:111]
	v_fma_f64 v[152:153], s[8:9], v[106:107], v[82:83]
	v_fmac_f64_e32 v[82:83], s[6:7], v[106:107]
	v_fmac_f64_e32 v[152:153], s[2:3], v[92:93]
	v_fmac_f64_e32 v[82:83], s[10:11], v[92:93]
	v_add_f64 v[92:93], v[94:95], v[84:85]
	v_add_f64 v[92:93], v[92:93], v[88:89]
	v_add_f64 v[108:109], v[112:113], -v[108:109]
	v_add_f64 v[110:111], v[116:117], -v[120:121]
	v_add_f64 v[92:93], v[92:93], v[98:99]
	v_add_f64 v[108:109], v[108:109], v[110:111]
	;; [unrolled: 1-line block ×4, first 2 shown]
	v_fmac_f64_e32 v[152:153], s[12:13], v[108:109]
	v_fmac_f64_e32 v[82:83], s[12:13], v[108:109]
	v_fma_f64 v[108:109], -0.5, v[92:93], v[94:95]
	v_add_f64 v[92:93], v[86:87], -v[104:105]
	v_fma_f64 v[110:111], s[8:9], v[92:93], v[108:109]
	v_add_f64 v[112:113], v[90:91], -v[100:101]
	v_add_f64 v[114:115], v[84:85], -v[88:89]
	;; [unrolled: 1-line block ×3, first 2 shown]
	v_fmac_f64_e32 v[108:109], s[6:7], v[92:93]
	v_fmac_f64_e32 v[110:111], s[10:11], v[112:113]
	v_add_f64 v[114:115], v[114:115], v[116:117]
	v_fmac_f64_e32 v[108:109], s[2:3], v[112:113]
	v_fmac_f64_e32 v[110:111], s[12:13], v[114:115]
	;; [unrolled: 1-line block ×3, first 2 shown]
	v_add_f64 v[114:115], v[84:85], v[102:103]
	v_fmac_f64_e32 v[94:95], -0.5, v[114:115]
	v_fma_f64 v[114:115], s[6:7], v[112:113], v[94:95]
	v_fmac_f64_e32 v[94:95], s[8:9], v[112:113]
	v_fmac_f64_e32 v[114:115], s[10:11], v[92:93]
	;; [unrolled: 1-line block ×3, first 2 shown]
	v_add_f64 v[92:93], v[96:97], v[86:87]
	v_add_f64 v[92:93], v[92:93], v[90:91]
	v_add_f64 v[116:117], v[88:89], -v[84:85]
	v_add_f64 v[118:119], v[98:99], -v[102:103]
	v_add_f64 v[92:93], v[92:93], v[100:101]
	v_add_f64 v[116:117], v[116:117], v[118:119]
	;; [unrolled: 1-line block ×4, first 2 shown]
	v_fmac_f64_e32 v[114:115], s[12:13], v[116:117]
	v_fmac_f64_e32 v[94:95], s[12:13], v[116:117]
	v_fma_f64 v[116:117], -0.5, v[92:93], v[96:97]
	v_add_f64 v[84:85], v[84:85], -v[102:103]
	v_fma_f64 v[102:103], s[6:7], v[84:85], v[116:117]
	v_add_f64 v[88:89], v[88:89], -v[98:99]
	v_add_f64 v[92:93], v[86:87], -v[90:91]
	v_add_f64 v[98:99], v[104:105], -v[100:101]
	v_fmac_f64_e32 v[116:117], s[8:9], v[84:85]
	v_fmac_f64_e32 v[102:103], s[2:3], v[88:89]
	v_add_f64 v[92:93], v[92:93], v[98:99]
	v_fmac_f64_e32 v[116:117], s[10:11], v[88:89]
	v_fmac_f64_e32 v[102:103], s[12:13], v[92:93]
	;; [unrolled: 1-line block ×3, first 2 shown]
	v_add_f64 v[92:93], v[86:87], v[104:105]
	v_fmac_f64_e32 v[96:97], -0.5, v[92:93]
	v_fma_f64 v[118:119], s[8:9], v[88:89], v[96:97]
	v_add_f64 v[86:87], v[90:91], -v[86:87]
	v_add_f64 v[90:91], v[100:101], -v[104:105]
	v_fmac_f64_e32 v[96:97], s[6:7], v[88:89]
	v_add_f64 v[86:87], v[86:87], v[90:91]
	v_fmac_f64_e32 v[96:97], s[10:11], v[84:85]
	v_fmac_f64_e32 v[96:97], s[12:13], v[86:87]
	v_mul_f64 v[120:121], v[102:103], s[10:11]
	v_mul_f64 v[156:157], v[96:97], s[8:9]
	;; [unrolled: 1-line block ×3, first 2 shown]
	v_fmac_f64_e32 v[120:121], s[18:19], v[110:111]
	v_fmac_f64_e32 v[96:97], s[6:7], v[94:95]
	v_add_f64 v[88:89], v[146:147], v[120:121]
	v_mul_f64 v[158:159], v[110:111], s[2:3]
	v_add_f64 v[100:101], v[82:83], v[96:97]
	v_add_f64 v[110:111], v[146:147], -v[120:121]
	v_add_f64 v[120:121], v[82:83], -v[96:97]
	v_add_f64 v[96:97], v[0:1], v[64:65]
	v_mul_f64 v[164:165], v[116:117], s[14:15]
	v_add_f64 v[96:97], v[96:97], v[68:69]
	v_fmac_f64_e32 v[118:119], s[2:3], v[84:85]
	v_mul_f64 v[160:161], v[116:117], s[10:11]
	v_fmac_f64_e32 v[164:165], s[2:3], v[108:109]
	v_add_f64 v[96:97], v[96:97], v[72:73]
	v_fmac_f64_e32 v[118:119], s[12:13], v[86:87]
	v_fmac_f64_e32 v[156:157], s[16:17], v[94:95]
	;; [unrolled: 1-line block ×3, first 2 shown]
	v_add_f64 v[104:105], v[140:141], v[164:165]
	v_add_f64 v[82:83], v[140:141], -v[164:165]
	s_waitcnt lgkmcnt(1)
	v_add_f64 v[140:141], v[96:97], v[76:77]
	v_add_f64 v[96:97], v[68:69], v[72:73]
	v_mul_f64 v[154:155], v[118:119], s[8:9]
	v_add_f64 v[98:99], v[80:81], v[156:157]
	v_fmac_f64_e32 v[158:159], s[18:19], v[102:103]
	v_mul_f64 v[162:163], v[118:119], s[12:13]
	v_add_f64 v[102:103], v[138:139], v[160:161]
	v_add_f64 v[118:119], v[80:81], -v[156:157]
	v_add_f64 v[80:81], v[138:139], -v[160:161]
	v_fma_f64 v[138:139], -0.5, v[96:97], v[0:1]
	v_add_f64 v[96:97], v[66:67], -v[78:79]
	v_add_f64 v[92:93], v[142:143], v[106:107]
	v_fmac_f64_e32 v[154:155], s[12:13], v[114:115]
	v_fmac_f64_e32 v[162:163], s[6:7], v[114:115]
	v_add_f64 v[94:95], v[144:145], v[112:113]
	v_add_f64 v[90:91], v[148:149], v[158:159]
	v_add_f64 v[114:115], v[142:143], -v[106:107]
	v_add_f64 v[116:117], v[144:145], -v[112:113]
	;; [unrolled: 1-line block ×3, first 2 shown]
	v_fma_f64 v[144:145], s[8:9], v[96:97], v[138:139]
	v_add_f64 v[142:143], v[70:71], -v[74:75]
	v_add_f64 v[146:147], v[64:65], -v[68:69]
	;; [unrolled: 1-line block ×3, first 2 shown]
	v_fmac_f64_e32 v[138:139], s[6:7], v[96:97]
	v_fmac_f64_e32 v[144:145], s[10:11], v[142:143]
	v_add_f64 v[146:147], v[146:147], v[148:149]
	v_fmac_f64_e32 v[138:139], s[2:3], v[142:143]
	v_fmac_f64_e32 v[144:145], s[12:13], v[146:147]
	;; [unrolled: 1-line block ×3, first 2 shown]
	v_add_f64 v[146:147], v[64:65], v[76:77]
	v_fmac_f64_e32 v[0:1], -0.5, v[146:147]
	v_fma_f64 v[148:149], s[6:7], v[142:143], v[0:1]
	v_fmac_f64_e32 v[0:1], s[8:9], v[142:143]
	v_fmac_f64_e32 v[148:149], s[10:11], v[96:97]
	;; [unrolled: 1-line block ×3, first 2 shown]
	v_add_f64 v[96:97], v[2:3], v[66:67]
	v_add_f64 v[96:97], v[96:97], v[70:71]
	;; [unrolled: 1-line block ×4, first 2 shown]
	v_add_f64 v[106:107], v[150:151], -v[154:155]
	v_add_f64 v[146:147], v[68:69], -v[64:65]
	;; [unrolled: 1-line block ×3, first 2 shown]
	v_add_f64 v[142:143], v[96:97], v[78:79]
	v_add_f64 v[96:97], v[70:71], v[74:75]
	v_add_f64 v[146:147], v[146:147], v[150:151]
	v_fma_f64 v[96:97], -0.5, v[96:97], v[2:3]
	v_add_f64 v[64:65], v[64:65], -v[76:77]
	v_fmac_f64_e32 v[148:149], s[12:13], v[146:147]
	v_fmac_f64_e32 v[0:1], s[12:13], v[146:147]
	v_fma_f64 v[146:147], s[6:7], v[64:65], v[96:97]
	v_add_f64 v[68:69], v[68:69], -v[72:73]
	v_add_f64 v[72:73], v[66:67], -v[70:71]
	;; [unrolled: 1-line block ×3, first 2 shown]
	v_fmac_f64_e32 v[96:97], s[8:9], v[64:65]
	v_fmac_f64_e32 v[146:147], s[2:3], v[68:69]
	v_add_f64 v[72:73], v[72:73], v[76:77]
	v_fmac_f64_e32 v[96:97], s[10:11], v[68:69]
	v_fmac_f64_e32 v[146:147], s[12:13], v[72:73]
	;; [unrolled: 1-line block ×3, first 2 shown]
	v_add_f64 v[72:73], v[66:67], v[78:79]
	v_fmac_f64_e32 v[2:3], -0.5, v[72:73]
	v_fma_f64 v[150:151], s[8:9], v[68:69], v[2:3]
	v_add_f64 v[66:67], v[70:71], -v[66:67]
	v_add_f64 v[70:71], v[74:75], -v[78:79]
	v_fmac_f64_e32 v[2:3], s[6:7], v[68:69]
	v_fmac_f64_e32 v[150:151], s[2:3], v[64:65]
	v_add_f64 v[66:67], v[66:67], v[70:71]
	v_fmac_f64_e32 v[2:3], s[10:11], v[64:65]
	v_fmac_f64_e32 v[150:151], s[12:13], v[66:67]
	;; [unrolled: 1-line block ×3, first 2 shown]
	v_add_f64 v[66:67], v[32:33], v[36:37]
	v_fma_f64 v[66:67], -0.5, v[66:67], v[4:5]
	s_waitcnt lgkmcnt(0)
	v_add_f64 v[68:69], v[30:31], -v[42:43]
	v_fma_f64 v[72:73], s[8:9], v[68:69], v[66:67]
	v_add_f64 v[70:71], v[34:35], -v[38:39]
	v_add_f64 v[74:75], v[28:29], -v[32:33]
	;; [unrolled: 1-line block ×3, first 2 shown]
	v_fmac_f64_e32 v[66:67], s[6:7], v[68:69]
	v_fmac_f64_e32 v[72:73], s[10:11], v[70:71]
	v_add_f64 v[74:75], v[74:75], v[76:77]
	v_fmac_f64_e32 v[66:67], s[2:3], v[70:71]
	v_fmac_f64_e32 v[72:73], s[12:13], v[74:75]
	v_fmac_f64_e32 v[66:67], s[12:13], v[74:75]
	v_add_f64 v[74:75], v[28:29], v[40:41]
	v_add_f64 v[64:65], v[4:5], v[28:29]
	v_fmac_f64_e32 v[4:5], -0.5, v[74:75]
	v_fma_f64 v[74:75], s[6:7], v[70:71], v[4:5]
	v_fmac_f64_e32 v[4:5], s[8:9], v[70:71]
	v_fmac_f64_e32 v[74:75], s[10:11], v[68:69]
	;; [unrolled: 1-line block ×3, first 2 shown]
	v_add_f64 v[68:69], v[6:7], v[30:31]
	v_add_f64 v[68:69], v[68:69], v[34:35]
	;; [unrolled: 1-line block ×4, first 2 shown]
	v_add_f64 v[76:77], v[32:33], -v[28:29]
	v_add_f64 v[78:79], v[36:37], -v[40:41]
	v_add_f64 v[70:71], v[68:69], v[42:43]
	v_add_f64 v[68:69], v[34:35], v[38:39]
	;; [unrolled: 1-line block ×4, first 2 shown]
	v_fma_f64 v[68:69], -0.5, v[68:69], v[6:7]
	v_add_f64 v[28:29], v[28:29], -v[40:41]
	v_add_f64 v[64:65], v[64:65], v[40:41]
	v_fmac_f64_e32 v[74:75], s[12:13], v[76:77]
	v_fmac_f64_e32 v[4:5], s[12:13], v[76:77]
	v_fma_f64 v[76:77], s[6:7], v[28:29], v[68:69]
	v_add_f64 v[32:33], v[32:33], -v[36:37]
	v_add_f64 v[36:37], v[30:31], -v[34:35]
	;; [unrolled: 1-line block ×3, first 2 shown]
	v_fmac_f64_e32 v[68:69], s[8:9], v[28:29]
	v_fmac_f64_e32 v[76:77], s[2:3], v[32:33]
	v_add_f64 v[36:37], v[36:37], v[40:41]
	v_fmac_f64_e32 v[68:69], s[10:11], v[32:33]
	v_fmac_f64_e32 v[76:77], s[12:13], v[36:37]
	;; [unrolled: 1-line block ×3, first 2 shown]
	v_add_f64 v[36:37], v[30:31], v[42:43]
	v_fmac_f64_e32 v[6:7], -0.5, v[36:37]
	v_fma_f64 v[78:79], s[8:9], v[32:33], v[6:7]
	v_add_f64 v[30:31], v[34:35], -v[30:31]
	v_add_f64 v[34:35], v[38:39], -v[42:43]
	v_fmac_f64_e32 v[6:7], s[6:7], v[32:33]
	v_fmac_f64_e32 v[78:79], s[2:3], v[28:29]
	v_add_f64 v[30:31], v[30:31], v[34:35]
	v_fmac_f64_e32 v[6:7], s[10:11], v[28:29]
	v_fmac_f64_e32 v[78:79], s[12:13], v[30:31]
	;; [unrolled: 1-line block ×3, first 2 shown]
	v_add_f64 v[86:87], v[152:153], v[162:163]
	v_add_f64 v[108:109], v[152:153], -v[162:163]
	v_mul_f64 v[156:157], v[78:79], s[8:9]
	v_mul_f64 v[78:79], v[78:79], s[12:13]
	;; [unrolled: 1-line block ×5, first 2 shown]
	v_fmac_f64_e32 v[78:79], s[6:7], v[74:75]
	v_fmac_f64_e32 v[164:165], s[6:7], v[4:5]
	;; [unrolled: 1-line block ×3, first 2 shown]
	v_mul_f64 v[158:159], v[6:7], s[8:9]
	v_fmac_f64_e32 v[162:163], s[14:15], v[66:67]
	v_add_f64 v[30:31], v[150:151], v[78:79]
	v_add_f64 v[42:43], v[2:3], v[164:165]
	;; [unrolled: 1-line block ×3, first 2 shown]
	v_add_f64 v[66:67], v[150:151], -v[78:79]
	v_add_f64 v[78:79], v[2:3], -v[164:165]
	;; [unrolled: 1-line block ×3, first 2 shown]
	v_mul_u32_u24_e32 v96, 10, v126
	v_lshl_add_u32 v96, v96, 4, 0
	v_mul_f64 v[154:155], v[76:77], s[10:11]
	v_fmac_f64_e32 v[158:159], s[16:17], v[4:5]
	v_mul_f64 v[160:161], v[72:73], s[2:3]
	s_barrier
	ds_write_b128 v96, v[16:19]
	ds_write_b128 v96, v[12:15] offset:16
	ds_write_b128 v96, v[8:11] offset:32
	;; [unrolled: 1-line block ×19, first 2 shown]
	v_mul_u32_u24_e32 v8, 10, v128
	v_add_f64 v[36:37], v[140:141], v[64:65]
	v_fmac_f64_e32 v[154:155], s[18:19], v[72:73]
	v_fmac_f64_e32 v[156:157], s[12:13], v[74:75]
	v_add_f64 v[40:41], v[0:1], v[158:159]
	v_fmac_f64_e32 v[160:161], s[18:19], v[76:77]
	v_add_f64 v[38:39], v[142:143], v[70:71]
	v_add_f64 v[76:77], v[0:1], -v[158:159]
	v_add_f64 v[0:1], v[138:139], -v[162:163]
	v_lshl_add_u32 v8, v8, 4, 0
	v_add_f64 v[32:33], v[144:145], v[154:155]
	v_add_f64 v[28:29], v[148:149], v[156:157]
	;; [unrolled: 1-line block ×4, first 2 shown]
	v_add_f64 v[72:73], v[140:141], -v[64:65]
	v_add_f64 v[68:69], v[144:145], -v[154:155]
	;; [unrolled: 1-line block ×5, first 2 shown]
	ds_write_b128 v8, v[36:39]
	ds_write_b128 v8, v[32:35] offset:16
	ds_write_b128 v8, v[28:31] offset:32
	;; [unrolled: 1-line block ×9, first 2 shown]
	v_mul_lo_u16_sdwa v0, v126, s20 dst_sel:DWORD dst_unused:UNUSED_PAD src0_sel:BYTE_0 src1_sel:DWORD
	v_lshrrev_b16_e32 v145, 11, v0
	v_mul_lo_u16_e32 v0, 10, v145
	v_sub_u16_e32 v146, v126, v0
	v_mov_b32_e32 v0, 5
	v_lshlrev_b32_sdwa v1, v0, v146 dst_sel:DWORD dst_unused:UNUSED_PAD src0_sel:DWORD src1_sel:BYTE_0
	s_waitcnt lgkmcnt(0)
	s_barrier
	global_load_dwordx4 v[44:47], v1, s[4:5] offset:16
	global_load_dwordx4 v[48:51], v1, s[4:5]
	v_mul_lo_u16_sdwa v1, v135, s20 dst_sel:DWORD dst_unused:UNUSED_PAD src0_sel:BYTE_0 src1_sel:DWORD
	v_lshrrev_b16_e32 v143, 11, v1
	v_mul_lo_u16_e32 v1, 10, v143
	v_sub_u16_e32 v144, v135, v1
	v_lshlrev_b32_sdwa v0, v0, v144 dst_sel:DWORD dst_unused:UNUSED_PAD src0_sel:DWORD src1_sel:BYTE_0
	global_load_dwordx4 v[58:61], v0, s[4:5] offset:16
	global_load_dwordx4 v[92:95], v0, s[4:5]
	v_add_u32_e32 v0, 0x320, v126
	v_mul_u32_u24_sdwa v1, v0, s25 dst_sel:DWORD dst_unused:UNUSED_PAD src0_sel:WORD_0 src1_sel:DWORD
	v_lshrrev_b32_e32 v137, 19, v1
	v_mul_lo_u16_e32 v1, 10, v137
	v_sub_u16_e32 v140, v0, v1
	v_lshlrev_b32_e32 v0, 5, v140
	global_load_dwordx4 v[96:99], v0, s[4:5]
	global_load_dwordx4 v[100:103], v0, s[4:5] offset:16
	v_add_u32_e32 v0, 0x384, v126
	v_mul_u32_u24_sdwa v1, v0, s25 dst_sel:DWORD dst_unused:UNUSED_PAD src0_sel:WORD_0 src1_sel:DWORD
	v_lshrrev_b32_e32 v141, 19, v1
	v_mul_lo_u16_e32 v1, 10, v141
	v_sub_u16_e32 v142, v0, v1
	v_lshlrev_b32_e32 v0, 5, v142
	global_load_dwordx4 v[104:107], v0, s[4:5]
	global_load_dwordx4 v[36:39], v0, s[4:5] offset:16
	ds_read_b128 v[108:111], v172 offset:17600
	ds_read_b128 v[88:91], v172 offset:19200
	;; [unrolled: 1-line block ×4, first 2 shown]
	ds_read_b128 v[20:23], v127
	ds_read_b128 v[16:19], v173
	ds_read_b128 v[76:79], v172 offset:20800
	ds_read_b128 v[84:87], v172 offset:22400
	;; [unrolled: 1-line block ×4, first 2 shown]
	ds_read_b128 v[12:15], v133
	ds_read_b128 v[8:11], v131
	ds_read_b128 v[24:27], v172 offset:1600
	ds_read_b128 v[4:7], v172 offset:12800
	;; [unrolled: 1-line block ×9, first 2 shown]
	ds_read_b128 v[28:31], v172
	ds_read_b128 v[40:43], v172 offset:46400
	s_mov_b32 s20, 0xe8584caa
	s_mov_b32 s21, 0xbfebb67a
	;; [unrolled: 1-line block ×3, first 2 shown]
	s_waitcnt vmcnt(6) lgkmcnt(5)
	v_mul_f64 v[56:57], v[64:65], v[50:51]
	v_mul_f64 v[50:51], v[62:63], v[50:51]
	v_fma_f64 v[66:67], v[64:65], v[48:49], -v[50:51]
	s_waitcnt lgkmcnt(3)
	v_mul_f64 v[64:65], v[70:71], v[46:47]
	v_mul_f64 v[46:47], v[68:69], v[46:47]
	v_fma_f64 v[70:71], v[70:71], v[44:45], -v[46:47]
	s_waitcnt vmcnt(4)
	v_mul_f64 v[46:47], v[108:109], v[94:95]
	v_fmac_f64_e32 v[64:65], v[68:69], v[44:45]
	v_mul_f64 v[44:45], v[110:111], v[94:95]
	v_fma_f64 v[50:51], v[110:111], v[92:93], -v[46:47]
	v_fmac_f64_e32 v[56:57], v[62:63], v[48:49]
	v_mul_f64 v[48:49], v[114:115], v[60:61]
	v_mul_f64 v[46:47], v[112:113], v[60:61]
	s_waitcnt vmcnt(3)
	v_mul_f64 v[60:61], v[116:117], v[98:99]
	v_fma_f64 v[120:121], v[118:119], v[96:97], -v[60:61]
	s_waitcnt vmcnt(2)
	v_mul_f64 v[60:61], v[148:149], v[102:103]
	v_fmac_f64_e32 v[48:49], v[112:113], v[58:59]
	v_fma_f64 v[58:59], v[114:115], v[58:59], -v[46:47]
	v_mul_f64 v[46:47], v[118:119], v[98:99]
	v_mul_f64 v[118:119], v[150:151], v[102:103]
	s_waitcnt vmcnt(0) lgkmcnt(0)
	v_mul_f64 v[110:111], v[42:43], v[38:39]
	v_fmac_f64_e32 v[110:111], v[40:41], v[36:37]
	v_mul_f64 v[38:39], v[40:41], v[38:39]
	v_mul_u32_u24_sdwa v40, v128, s25 dst_sel:DWORD dst_unused:UNUSED_PAD src0_sel:WORD_0 src1_sel:DWORD
	v_lshrrev_b32_e32 v147, 19, v40
	v_mul_lo_u16_e32 v40, 10, v147
	v_sub_u16_e32 v133, v128, v40
	v_fma_f64 v[138:139], v[150:151], v[100:101], -v[60:61]
	v_mul_f64 v[60:61], v[152:153], v[106:107]
	v_lshlrev_b32_e32 v40, 5, v133
	v_fma_f64 v[38:39], v[42:43], v[36:37], -v[38:39]
	v_add_f64 v[36:37], v[28:29], v[56:57]
	v_fmac_f64_e32 v[46:47], v[116:117], v[96:97]
	v_fmac_f64_e32 v[118:119], v[148:149], v[100:101]
	v_fma_f64 v[116:117], v[154:155], v[104:105], -v[60:61]
	global_load_dwordx4 v[96:99], v40, s[4:5] offset:16
	global_load_dwordx4 v[100:103], v40, s[4:5]
	v_add_f64 v[60:61], v[36:37], v[64:65]
	v_add_f64 v[36:37], v[56:57], v[64:65]
	v_mul_u32_u24_sdwa v40, v136, s25 dst_sel:DWORD dst_unused:UNUSED_PAD src0_sel:WORD_0 src1_sel:DWORD
	v_fmac_f64_e32 v[28:29], -0.5, v[36:37]
	v_add_f64 v[36:37], v[66:67], -v[70:71]
	v_lshrrev_b32_e32 v148, 19, v40
	v_mul_lo_u16_e32 v40, 10, v148
	v_fma_f64 v[68:69], s[20:21], v[36:37], v[28:29]
	v_fmac_f64_e32 v[28:29], s[22:23], v[36:37]
	v_add_f64 v[36:37], v[30:31], v[66:67]
	v_sub_u16_e32 v136, v136, v40
	v_add_f64 v[62:63], v[36:37], v[70:71]
	v_add_f64 v[36:37], v[66:67], v[70:71]
	v_fmac_f64_e32 v[44:45], v[108:109], v[92:93]
	v_mul_f64 v[108:109], v[154:155], v[106:107]
	v_lshlrev_b32_e32 v40, 5, v136
	v_fmac_f64_e32 v[30:31], -0.5, v[36:37]
	v_add_f64 v[36:37], v[56:57], -v[64:65]
	v_fmac_f64_e32 v[108:109], v[152:153], v[104:105]
	global_load_dwordx4 v[104:107], v40, s[4:5] offset:16
	global_load_dwordx4 v[112:115], v40, s[4:5]
	v_fma_f64 v[70:71], s[22:23], v[36:37], v[30:31]
	v_fmac_f64_e32 v[30:31], s[20:21], v[36:37]
	v_add_f64 v[36:37], v[24:25], v[44:45]
	v_add_f64 v[64:65], v[36:37], v[48:49]
	;; [unrolled: 1-line block ×3, first 2 shown]
	v_fmac_f64_e32 v[24:25], -0.5, v[36:37]
	v_add_f64 v[36:37], v[50:51], -v[58:59]
	v_fma_f64 v[56:57], s[20:21], v[36:37], v[24:25]
	v_fmac_f64_e32 v[24:25], s[22:23], v[36:37]
	v_add_f64 v[36:37], v[26:27], v[50:51]
	v_add_f64 v[66:67], v[36:37], v[58:59]
	v_add_f64 v[36:37], v[50:51], v[58:59]
	v_fmac_f64_e32 v[26:27], -0.5, v[36:37]
	v_add_f64 v[36:37], v[44:45], -v[48:49]
	v_fma_f64 v[58:59], s[22:23], v[36:37], v[26:27]
	v_fmac_f64_e32 v[26:27], s[20:21], v[36:37]
	v_mul_u32_u24_sdwa v36, v134, s25 dst_sel:DWORD dst_unused:UNUSED_PAD src0_sel:WORD_0 src1_sel:DWORD
	v_lshrrev_b32_e32 v149, 19, v36
	v_mul_lo_u16_e32 v36, 10, v149
	v_sub_u16_e32 v170, v134, v36
	v_lshlrev_b32_e32 v36, 5, v170
	global_load_dwordx4 v[92:95], v36, s[4:5] offset:16
	global_load_dwordx4 v[150:153], v36, s[4:5]
	v_add_f64 v[36:37], v[4:5], v[46:47]
	v_add_f64 v[48:49], v[36:37], v[118:119]
	v_add_f64 v[36:37], v[46:47], v[118:119]
	v_fmac_f64_e32 v[4:5], -0.5, v[36:37]
	v_add_f64 v[36:37], v[120:121], -v[138:139]
	v_fma_f64 v[44:45], s[20:21], v[36:37], v[4:5]
	v_fmac_f64_e32 v[4:5], s[22:23], v[36:37]
	v_add_f64 v[36:37], v[6:7], v[120:121]
	v_add_f64 v[50:51], v[36:37], v[138:139]
	v_add_f64 v[36:37], v[120:121], v[138:139]
	v_fmac_f64_e32 v[6:7], -0.5, v[36:37]
	v_add_f64 v[36:37], v[46:47], -v[118:119]
	v_fma_f64 v[46:47], s[22:23], v[36:37], v[6:7]
	v_fmac_f64_e32 v[6:7], s[20:21], v[36:37]
	;; [unrolled: 7-line block ×4, first 2 shown]
	v_mul_u32_u24_e32 v108, 0x1e0, v145
	v_lshlrev_b32_sdwa v109, v175, v146 dst_sel:DWORD dst_unused:UNUSED_PAD src0_sel:DWORD src1_sel:BYTE_0
	v_add3_u32 v134, 0, v108, v109
	v_mul_u32_u24_sdwa v108, v132, s25 dst_sel:DWORD dst_unused:UNUSED_PAD src0_sel:WORD_0 src1_sel:DWORD
	v_lshrrev_b32_e32 v145, 19, v108
	v_mul_lo_u16_e32 v108, 10, v145
	v_sub_u16_e32 v146, v132, v108
	v_lshlrev_b32_e32 v116, 5, v146
	s_waitcnt vmcnt(5)
	v_mul_f64 v[138:139], v[82:83], v[98:99]
	s_waitcnt vmcnt(4)
	v_mul_f64 v[120:121], v[90:91], v[102:103]
	v_fmac_f64_e32 v[120:121], v[88:89], v[100:101]
	v_mul_f64 v[88:89], v[88:89], v[102:103]
	v_fma_f64 v[102:103], v[90:91], v[100:101], -v[88:89]
	v_fmac_f64_e32 v[138:139], v[80:81], v[96:97]
	v_mul_f64 v[80:81], v[80:81], v[98:99]
	v_fma_f64 v[82:83], v[82:83], v[96:97], -v[80:81]
	global_load_dwordx4 v[108:111], v116, s[4:5] offset:16
	s_nop 0
	global_load_dwordx4 v[116:119], v116, s[4:5]
	s_waitcnt vmcnt(5)
	v_mul_f64 v[100:101], v[74:75], v[106:107]
	v_fmac_f64_e32 v[100:101], v[72:73], v[104:105]
	v_mul_f64 v[72:73], v[72:73], v[106:107]
	v_fma_f64 v[74:75], v[74:75], v[104:105], -v[72:73]
	v_add_f64 v[72:73], v[20:21], v[120:121]
	v_add_f64 v[88:89], v[72:73], v[138:139]
	;; [unrolled: 1-line block ×3, first 2 shown]
	v_fmac_f64_e32 v[20:21], -0.5, v[72:73]
	v_add_f64 v[72:73], v[102:103], -v[82:83]
	v_fma_f64 v[80:81], s[20:21], v[72:73], v[20:21]
	v_fmac_f64_e32 v[20:21], s[22:23], v[72:73]
	v_add_f64 v[72:73], v[22:23], v[102:103]
	s_waitcnt vmcnt(4)
	v_mul_f64 v[98:99], v[78:79], v[114:115]
	v_add_f64 v[90:91], v[72:73], v[82:83]
	v_add_f64 v[72:73], v[102:103], v[82:83]
	v_fmac_f64_e32 v[98:99], v[76:77], v[112:113]
	v_fmac_f64_e32 v[22:23], -0.5, v[72:73]
	v_add_f64 v[72:73], v[120:121], -v[138:139]
	v_mul_f64 v[76:77], v[76:77], v[114:115]
	v_fma_f64 v[82:83], s[22:23], v[72:73], v[22:23]
	v_fmac_f64_e32 v[22:23], s[20:21], v[72:73]
	v_add_f64 v[72:73], v[16:17], v[98:99]
	v_fma_f64 v[96:97], v[78:79], v[112:113], -v[76:77]
	v_add_f64 v[76:77], v[72:73], v[100:101]
	v_add_f64 v[72:73], v[98:99], v[100:101]
	v_fmac_f64_e32 v[16:17], -0.5, v[72:73]
	v_add_f64 v[78:79], v[96:97], -v[74:75]
	v_fma_f64 v[72:73], s[20:21], v[78:79], v[16:17]
	v_fmac_f64_e32 v[16:17], s[22:23], v[78:79]
	v_add_f64 v[78:79], v[18:19], v[96:97]
	v_add_f64 v[78:79], v[78:79], v[74:75]
	;; [unrolled: 1-line block ×3, first 2 shown]
	s_waitcnt vmcnt(2)
	v_mul_f64 v[96:97], v[86:87], v[152:153]
	v_fmac_f64_e32 v[96:97], v[84:85], v[150:151]
	v_mul_f64 v[84:85], v[84:85], v[152:153]
	v_fma_f64 v[84:85], v[86:87], v[150:151], -v[84:85]
	v_mul_u32_u24_sdwa v86, v130, s25 dst_sel:DWORD dst_unused:UNUSED_PAD src0_sel:WORD_0 src1_sel:DWORD
	v_lshrrev_b32_e32 v131, 19, v86
	v_mul_lo_u16_e32 v86, 10, v131
	v_sub_u16_e32 v121, v130, v86
	v_lshlrev_b32_e32 v86, 5, v121
	global_load_dwordx4 v[104:107], v86, s[4:5] offset:16
	global_load_dwordx4 v[112:115], v86, s[4:5]
	v_mul_u32_u24_sdwa v86, v122, s25 dst_sel:DWORD dst_unused:UNUSED_PAD src0_sel:WORD_0 src1_sel:DWORD
	v_lshrrev_b32_e32 v130, 19, v86
	v_mul_lo_u16_e32 v86, 10, v130
	v_sub_u16_e32 v120, v122, v86
	v_lshlrev_b32_e32 v86, 5, v120
	global_load_dwordx4 v[150:153], v86, s[4:5] offset:16
	global_load_dwordx4 v[154:157], v86, s[4:5]
	v_add_f64 v[86:87], v[98:99], -v[100:101]
	v_mul_f64 v[98:99], v[54:55], v[94:95]
	v_fmac_f64_e32 v[98:99], v[52:53], v[92:93]
	v_mul_f64 v[52:53], v[52:53], v[94:95]
	ds_read_b128 v[158:161], v172 offset:24000
	ds_read_b128 v[162:165], v172 offset:25600
	v_fma_f64 v[92:93], v[54:55], v[92:93], -v[52:53]
	ds_read_b128 v[52:55], v172 offset:40000
	ds_read_b128 v[166:169], v172 offset:41600
	v_fmac_f64_e32 v[18:19], -0.5, v[74:75]
	v_mul_u32_u24_e32 v74, 0x1e0, v143
	v_lshlrev_b32_sdwa v75, v175, v144 dst_sel:DWORD dst_unused:UNUSED_PAD src0_sel:DWORD src1_sel:BYTE_0
	s_movk_i32 s25, 0x1e0
	v_add3_u32 v143, 0, v74, v75
	v_fma_f64 v[74:75], s[22:23], v[86:87], v[18:19]
	v_fmac_f64_e32 v[18:19], s[20:21], v[86:87]
	v_perm_b32 v86, v148, v147, s26
	v_pk_mul_lo_u16 v122, v86, s25 op_sel_hi:[1,0]
	v_lshlrev_b32_e32 v87, 4, v133
	v_and_b32_e32 v86, 0xffe0, v122
	v_add3_u32 v132, 0, v86, v87
	s_waitcnt vmcnt(5) lgkmcnt(1)
	v_mul_f64 v[138:139], v[54:55], v[110:111]
	v_fmac_f64_e32 v[138:139], v[52:53], v[108:109]
	v_mul_f64 v[52:53], v[52:53], v[110:111]
	v_fma_f64 v[52:53], v[54:55], v[108:109], -v[52:53]
	v_add_f64 v[54:55], v[12:13], v[96:97]
	v_add_f64 v[108:109], v[54:55], v[98:99]
	;; [unrolled: 1-line block ×3, first 2 shown]
	v_fmac_f64_e32 v[12:13], -0.5, v[54:55]
	v_add_f64 v[54:55], v[84:85], -v[92:93]
	v_fma_f64 v[100:101], s[20:21], v[54:55], v[12:13]
	v_fmac_f64_e32 v[12:13], s[22:23], v[54:55]
	v_add_f64 v[54:55], v[14:15], v[84:85]
	s_waitcnt vmcnt(4)
	v_mul_f64 v[86:87], v[160:161], v[118:119]
	v_add_f64 v[110:111], v[54:55], v[92:93]
	v_add_f64 v[54:55], v[84:85], v[92:93]
	v_fmac_f64_e32 v[86:87], v[158:159], v[116:117]
	v_fmac_f64_e32 v[14:15], -0.5, v[54:55]
	v_add_f64 v[54:55], v[96:97], -v[98:99]
	v_mul_f64 v[94:95], v[158:159], v[118:119]
	v_fma_f64 v[102:103], s[22:23], v[54:55], v[14:15]
	v_fmac_f64_e32 v[14:15], s[20:21], v[54:55]
	v_add_f64 v[54:55], v[8:9], v[86:87]
	v_fma_f64 v[94:95], v[160:161], v[116:117], -v[94:95]
	v_add_f64 v[96:97], v[54:55], v[138:139]
	v_add_f64 v[54:55], v[86:87], v[138:139]
	v_fmac_f64_e32 v[8:9], -0.5, v[54:55]
	v_add_f64 v[54:55], v[94:95], -v[52:53]
	v_fma_f64 v[92:93], s[20:21], v[54:55], v[8:9]
	v_fmac_f64_e32 v[8:9], s[22:23], v[54:55]
	v_add_f64 v[54:55], v[10:11], v[94:95]
	v_add_f64 v[98:99], v[54:55], v[52:53]
	ds_read_b128 v[116:119], v172 offset:43200
	v_lshrrev_b32_e32 v54, 16, v122
	v_perm_b32 v122, v145, v149, s26
	v_lshlrev_b32_e32 v55, 4, v136
	v_add_f64 v[52:53], v[94:95], v[52:53]
	v_pk_mul_lo_u16 v122, v122, s25 op_sel_hi:[1,0]
	v_add3_u32 v133, 0, v54, v55
	v_fmac_f64_e32 v[10:11], -0.5, v[52:53]
	v_add_f64 v[138:139], v[86:87], -v[138:139]
	ds_read_b128 v[84:87], v174
	ds_read_b128 v[52:55], v123
	v_and_b32_e32 v123, 0xffe0, v122
	v_lshlrev_b32_e32 v136, 4, v170
	v_add3_u32 v123, 0, v123, v136
	v_lshlrev_b32_e32 v136, 4, v146
	v_fma_f64 v[94:95], s[22:23], v[138:139], v[10:11]
	v_fmac_f64_e32 v[10:11], s[20:21], v[138:139]
	v_lshrrev_b32_e32 v122, 16, v122
	v_add3_u32 v122, 0, v122, v136
	s_waitcnt lgkmcnt(0)
	s_barrier
	ds_write_b128 v134, v[60:63]
	ds_write_b128 v134, v[68:71] offset:160
	ds_write_b128 v134, v[28:31] offset:320
	ds_write_b128 v143, v[64:67]
	ds_write_b128 v143, v[56:59] offset:160
	ds_write_b128 v143, v[24:27] offset:320
	;; [unrolled: 3-line block ×6, first 2 shown]
	s_waitcnt vmcnt(3)
	v_mul_f64 v[144:145], v[168:169], v[106:107]
	s_waitcnt vmcnt(2)
	v_mul_f64 v[138:139], v[164:165], v[114:115]
	v_fmac_f64_e32 v[138:139], v[162:163], v[112:113]
	v_mul_f64 v[114:115], v[162:163], v[114:115]
	v_fmac_f64_e32 v[144:145], v[166:167], v[104:105]
	v_mul_f64 v[106:107], v[166:167], v[106:107]
	s_waitcnt vmcnt(1)
	v_mul_f64 v[148:149], v[118:119], v[152:153]
	s_waitcnt vmcnt(0)
	v_mul_f64 v[146:147], v[34:35], v[156:157]
	v_fmac_f64_e32 v[146:147], v[32:33], v[154:155]
	v_mul_f64 v[32:33], v[32:33], v[156:157]
	v_fma_f64 v[34:35], v[34:35], v[154:155], -v[32:33]
	v_mul_f64 v[32:33], v[116:117], v[152:153]
	v_fmac_f64_e32 v[148:149], v[116:117], v[150:151]
	v_fma_f64 v[150:151], v[118:119], v[150:151], -v[32:33]
	v_add_f64 v[32:33], v[84:85], v[138:139]
	v_fma_f64 v[114:115], v[164:165], v[112:113], -v[114:115]
	v_fma_f64 v[104:105], v[168:169], v[104:105], -v[106:107]
	v_add_f64 v[116:117], v[32:33], v[144:145]
	v_add_f64 v[32:33], v[138:139], v[144:145]
	v_fmac_f64_e32 v[84:85], -0.5, v[32:33]
	v_add_f64 v[32:33], v[114:115], -v[104:105]
	v_fma_f64 v[112:113], s[20:21], v[32:33], v[84:85]
	v_fmac_f64_e32 v[84:85], s[22:23], v[32:33]
	v_add_f64 v[32:33], v[86:87], v[114:115]
	v_add_f64 v[118:119], v[32:33], v[104:105]
	;; [unrolled: 1-line block ×3, first 2 shown]
	v_fmac_f64_e32 v[86:87], -0.5, v[32:33]
	v_add_f64 v[32:33], v[138:139], -v[144:145]
	v_perm_b32 v8, v130, v131, s26
	v_fma_f64 v[114:115], s[22:23], v[32:33], v[86:87]
	v_fmac_f64_e32 v[86:87], s[20:21], v[32:33]
	v_add_f64 v[32:33], v[52:53], v[146:147]
	v_pk_mul_lo_u16 v8, v8, s25 op_sel_hi:[1,0]
	v_add_f64 v[104:105], v[32:33], v[148:149]
	v_add_f64 v[32:33], v[146:147], v[148:149]
	v_and_b32_e32 v9, 0xffe0, v8
	v_lshlrev_b32_e32 v10, 4, v121
	v_fmac_f64_e32 v[52:53], -0.5, v[32:33]
	v_add_f64 v[106:107], v[34:35], -v[150:151]
	v_add3_u32 v9, 0, v9, v10
	v_fma_f64 v[32:33], s[20:21], v[106:107], v[52:53]
	v_fmac_f64_e32 v[52:53], s[22:23], v[106:107]
	v_add_f64 v[106:107], v[54:55], v[34:35]
	v_add_f64 v[34:35], v[34:35], v[150:151]
	ds_write_b128 v9, v[116:119]
	ds_write_b128 v9, v[112:115] offset:160
	ds_write_b128 v9, v[84:87] offset:320
	v_lshrrev_b32_e32 v8, 16, v8
	v_lshlrev_b32_e32 v9, 4, v120
	v_add_f64 v[106:107], v[106:107], v[150:151]
	v_fmac_f64_e32 v[54:55], -0.5, v[34:35]
	v_add_f64 v[138:139], v[146:147], -v[148:149]
	v_add3_u32 v8, 0, v8, v9
	v_fma_f64 v[34:35], s[22:23], v[138:139], v[54:55]
	v_fmac_f64_e32 v[54:55], s[20:21], v[138:139]
	ds_write_b128 v8, v[104:107]
	ds_write_b128 v8, v[32:35] offset:160
	ds_write_b128 v8, v[52:55] offset:320
	v_mul_u32_u24_e32 v8, 0x1e0, v137
	v_lshlrev_b32_e32 v9, 4, v140
	v_add3_u32 v8, 0, v8, v9
	ds_write_b128 v8, v[48:51]
	ds_write_b128 v8, v[44:47] offset:160
	ds_write_b128 v8, v[4:7] offset:320
	v_mul_u32_u24_e32 v4, 0x1e0, v141
	v_lshlrev_b32_e32 v5, 4, v142
	v_add3_u32 v4, 0, v4, v5
	s_movk_i32 s20, 0x89
	ds_write_b128 v4, v[40:43]
	ds_write_b128 v4, v[36:39] offset:160
	ds_write_b128 v4, v[0:3] offset:320
	v_mul_lo_u16_sdwa v0, v126, s20 dst_sel:DWORD dst_unused:UNUSED_PAD src0_sel:BYTE_0 src1_sel:DWORD
	v_lshrrev_b16_e32 v176, 12, v0
	v_mul_lo_u16_e32 v0, 30, v176
	v_sub_u16_e32 v177, v126, v0
	v_mov_b32_e32 v0, 9
	v_mul_u32_u24_sdwa v1, v177, v0 dst_sel:DWORD dst_unused:UNUSED_PAD src0_sel:BYTE_0 src1_sel:DWORD
	v_lshlrev_b32_e32 v1, 4, v1
	s_waitcnt lgkmcnt(0)
	s_barrier
	global_load_dwordx4 v[64:67], v1, s[4:5] offset:320
	global_load_dwordx4 v[60:63], v1, s[4:5] offset:336
	;; [unrolled: 1-line block ×8, first 2 shown]
	v_mul_lo_u16_sdwa v2, v135, s20 dst_sel:DWORD dst_unused:UNUSED_PAD src0_sel:BYTE_0 src1_sel:DWORD
	global_load_dwordx4 v[68:71], v1, s[4:5] offset:448
	v_lshrrev_b16_e32 v179, 12, v2
	v_mul_lo_u16_e32 v1, 30, v179
	v_sub_u16_e32 v178, v135, v1
	v_mul_u32_u24_sdwa v0, v178, v0 dst_sel:DWORD dst_unused:UNUSED_PAD src0_sel:BYTE_0 src1_sel:DWORD
	v_lshlrev_b32_e32 v170, 4, v0
	global_load_dwordx4 v[84:87], v170, s[4:5] offset:320
	global_load_dwordx4 v[44:47], v170, s[4:5] offset:352
	;; [unrolled: 1-line block ×3, first 2 shown]
	ds_read_b128 v[112:115], v173
	ds_read_b128 v[116:119], v174
	ds_read_b128 v[88:91], v172 offset:6400
	ds_read_b128 v[120:123], v172 offset:19200
	;; [unrolled: 1-line block ×6, first 2 shown]
	global_load_dwordx4 v[48:51], v170, s[4:5] offset:368
	ds_read_b128 v[142:145], v172 offset:33600
	ds_read_b128 v[8:11], v172 offset:35200
	;; [unrolled: 1-line block ×6, first 2 shown]
	global_load_dwordx4 v[72:75], v170, s[4:5] offset:384
	ds_read_b128 v[138:141], v172 offset:14400
	ds_read_b128 v[28:31], v172 offset:12800
	;; [unrolled: 1-line block ×8, first 2 shown]
	s_mov_b32 s20, 0x8889
	s_movk_i32 s25, 0x1000
	s_mov_b64 s[22:23], 0x1220
	s_mov_b64 s[26:27], 0x4a60
	s_waitcnt vmcnt(13) lgkmcnt(14)
	v_mul_f64 v[130:131], v[114:115], v[66:67]
	s_waitcnt vmcnt(12)
	v_mul_f64 v[160:161], v[118:119], v[62:63]
	s_waitcnt vmcnt(11) lgkmcnt(7)
	v_mul_f64 v[146:147], v[140:141], v[58:59]
	v_mul_f64 v[58:59], v[138:139], v[58:59]
	v_fmac_f64_e32 v[146:147], v[138:139], v[56:57]
	v_fma_f64 v[138:139], v[140:141], v[56:57], -v[58:59]
	s_waitcnt vmcnt(10)
	v_mul_f64 v[162:163], v[122:123], v[54:55]
	v_mul_f64 v[54:55], v[120:121], v[54:55]
	s_waitcnt vmcnt(9) lgkmcnt(3)
	v_mul_f64 v[148:149], v[158:159], v[110:111]
	s_waitcnt vmcnt(8)
	v_mul_f64 v[56:57], v[134:135], v[106:107]
	v_fmac_f64_e32 v[162:163], v[120:121], v[52:53]
	v_fma_f64 v[154:155], v[122:123], v[52:53], -v[54:55]
	v_fmac_f64_e32 v[148:149], v[156:157], v[108:109]
	v_mul_f64 v[52:53], v[156:157], v[110:111]
	v_fma_f64 v[156:157], v[136:137], v[104:105], -v[56:57]
	s_waitcnt vmcnt(7)
	v_mul_f64 v[150:151], v[144:145], v[102:103]
	v_mul_f64 v[56:57], v[142:143], v[102:103]
	;; [unrolled: 1-line block ×3, first 2 shown]
	v_fmac_f64_e32 v[150:151], v[142:143], v[100:101]
	v_fma_f64 v[142:143], v[144:145], v[100:101], -v[56:57]
	v_mul_u32_u24_sdwa v100, v128, s20 dst_sel:DWORD dst_unused:UNUSED_PAD src0_sel:WORD_0 src1_sel:DWORD
	v_fmac_f64_e32 v[160:161], v[116:117], v[60:61]
	v_fma_f64 v[152:153], v[118:119], v[60:61], -v[62:63]
	v_fma_f64 v[140:141], v[158:159], v[108:109], -v[52:53]
	global_load_dwordx4 v[52:55], v170, s[4:5] offset:416
	global_load_dwordx4 v[60:63], v170, s[4:5] offset:400
	v_lshrrev_b32_e32 v180, 20, v100
	v_mul_lo_u16_e32 v100, 30, v180
	v_sub_u16_e32 v181, v128, v100
	v_mul_u32_u24_e32 v100, 9, v181
	v_mul_f64 v[66:67], v[112:113], v[66:67]
	v_mul_f64 v[164:165], v[136:137], v[106:107]
	v_lshlrev_b32_e32 v116, 4, v100
	v_fmac_f64_e32 v[130:131], v[112:113], v[64:65]
	v_fma_f64 v[132:133], v[114:115], v[64:65], -v[66:67]
	v_fmac_f64_e32 v[164:165], v[134:135], v[104:105]
	global_load_dwordx4 v[56:59], v170, s[4:5] offset:432
	global_load_dwordx4 v[64:67], v170, s[4:5] offset:448
	;; [unrolled: 1-line block ×4, first 2 shown]
	s_waitcnt vmcnt(12) lgkmcnt(1)
	v_mul_f64 v[170:171], v[168:169], v[34:35]
	v_mul_f64 v[34:35], v[166:167], v[34:35]
	v_fmac_f64_e32 v[170:171], v[166:167], v[32:33]
	v_fma_f64 v[168:169], v[168:169], v[32:33], -v[34:35]
	s_waitcnt vmcnt(11)
	v_mul_f64 v[166:167], v[98:99], v[70:71]
	v_mul_f64 v[32:33], v[96:97], v[70:71]
	v_fmac_f64_e32 v[166:167], v[96:97], v[68:69]
	v_fma_f64 v[158:159], v[98:99], v[68:69], -v[32:33]
	global_load_dwordx4 v[32:35], v116, s[4:5] offset:368
	global_load_dwordx4 v[68:71], v116, s[4:5] offset:352
	s_waitcnt vmcnt(12)
	v_mul_f64 v[108:109], v[90:91], v[86:87]
	v_mul_f64 v[86:87], v[88:89], v[86:87]
	v_fmac_f64_e32 v[108:109], v[88:89], v[84:85]
	v_fma_f64 v[110:111], v[90:91], v[84:85], -v[86:87]
	global_load_dwordx4 v[88:91], v116, s[4:5] offset:400
	global_load_dwordx4 v[112:115], v116, s[4:5] offset:384
	;; [unrolled: 1-line block ×5, first 2 shown]
	s_waitcnt vmcnt(14)
	v_mul_f64 v[144:145], v[42:43], v[50:51]
	v_fmac_f64_e32 v[144:145], v[40:41], v[48:49]
	v_mul_f64 v[40:41], v[40:41], v[50:51]
	v_mul_f64 v[134:135], v[94:95], v[82:83]
	;; [unrolled: 1-line block ×3, first 2 shown]
	v_fma_f64 v[136:137], v[42:43], v[48:49], -v[40:41]
	s_waitcnt vmcnt(13)
	v_mul_f64 v[48:49], v[38:39], v[74:75]
	v_fmac_f64_e32 v[134:135], v[92:93], v[80:81]
	v_fma_f64 v[80:81], v[94:95], v[80:81], -v[82:83]
	v_mul_f64 v[82:83], v[78:79], v[46:47]
	v_mul_f64 v[46:47], v[76:77], v[46:47]
	v_fmac_f64_e32 v[48:49], v[36:37], v[72:73]
	v_mul_f64 v[36:37], v[36:37], v[74:75]
	v_fmac_f64_e32 v[82:83], v[76:77], v[44:45]
	v_fma_f64 v[44:45], v[78:79], v[44:45], -v[46:47]
	v_fma_f64 v[46:47], v[38:39], v[72:73], -v[36:37]
	ds_read_b128 v[40:43], v172 offset:27200
	ds_read_b128 v[76:79], v172 offset:1600
	s_mov_b64 s[20:21], 0x1260
	s_waitcnt vmcnt(11)
	v_mul_f64 v[72:73], v[14:15], v[62:63]
	v_fmac_f64_e32 v[72:73], v[12:13], v[60:61]
	v_mul_f64 v[12:13], v[12:13], v[62:63]
	v_fma_f64 v[62:63], v[14:15], v[60:61], -v[12:13]
	ds_read_b128 v[12:15], v172 offset:40000
	v_mul_f64 v[60:61], v[10:11], v[54:55]
	v_fmac_f64_e32 v[60:61], v[8:9], v[52:53]
	v_mul_f64 v[8:9], v[8:9], v[54:55]
	v_fma_f64 v[50:51], v[10:11], v[52:53], -v[8:9]
	ds_read_b128 v[8:11], v172 offset:41600
	s_waitcnt vmcnt(10) lgkmcnt(1)
	v_mul_f64 v[74:75], v[14:15], v[58:59]
	s_waitcnt vmcnt(9)
	v_mul_f64 v[54:55], v[6:7], v[66:67]
	s_waitcnt vmcnt(7)
	v_mul_f64 v[98:99], v[2:3], v[106:107]
	v_fmac_f64_e32 v[54:55], v[4:5], v[64:65]
	v_mul_f64 v[4:5], v[4:5], v[66:67]
	v_fmac_f64_e32 v[98:99], v[0:1], v[104:105]
	v_mul_f64 v[0:1], v[0:1], v[106:107]
	v_fma_f64 v[52:53], v[6:7], v[64:65], -v[4:5]
	v_fma_f64 v[104:105], v[2:3], v[104:105], -v[0:1]
	ds_read_b128 v[0:3], v127
	ds_read_b128 v[4:7], v172 offset:32000
	v_fmac_f64_e32 v[74:75], v[12:13], v[56:57]
	v_mul_f64 v[12:13], v[12:13], v[58:59]
	v_fma_f64 v[56:57], v[14:15], v[56:57], -v[12:13]
	v_mul_f64 v[12:13], v[28:29], v[102:103]
	v_mul_f64 v[116:117], v[30:31], v[102:103]
	v_fma_f64 v[102:103], v[30:31], v[100:101], -v[12:13]
	s_waitcnt vmcnt(5)
	v_mul_f64 v[12:13], v[24:25], v[70:71]
	v_fma_f64 v[84:85], v[26:27], v[68:69], -v[12:13]
	ds_read_b128 v[36:39], v172
	ds_read_b128 v[12:15], v172 offset:46400
	v_mul_f64 v[118:119], v[22:23], v[34:35]
	v_fmac_f64_e32 v[118:119], v[20:21], v[32:33]
	v_mul_f64 v[20:21], v[20:21], v[34:35]
	s_waitcnt vmcnt(4) lgkmcnt(2)
	v_mul_f64 v[120:121], v[6:7], v[90:91]
	v_fma_f64 v[106:107], v[22:23], v[32:33], -v[20:21]
	s_waitcnt vmcnt(3)
	v_mul_f64 v[94:95], v[42:43], v[114:115]
	v_mul_f64 v[20:21], v[40:41], v[114:115]
	v_fmac_f64_e32 v[120:121], v[4:5], v[88:89]
	v_mul_f64 v[4:5], v[4:5], v[90:91]
	v_fmac_f64_e32 v[94:95], v[40:41], v[112:113]
	v_fma_f64 v[86:87], v[42:43], v[112:113], -v[20:21]
	v_fma_f64 v[112:113], v[6:7], v[88:89], -v[4:5]
	s_waitcnt vmcnt(1)
	v_mul_f64 v[4:5], v[16:17], v[188:189]
	v_fma_f64 v[88:89], v[18:19], v[186:187], -v[4:5]
	v_mul_f64 v[4:5], v[8:9], v[184:185]
	v_fma_f64 v[114:115], v[10:11], v[182:183], -v[4:5]
	s_waitcnt vmcnt(0) lgkmcnt(0)
	v_mul_f64 v[4:5], v[12:13], v[192:193]
	v_fma_f64 v[90:91], v[14:15], v[190:191], -v[4:5]
	v_add_f64 v[4:5], v[36:37], v[160:161]
	v_add_f64 v[4:5], v[4:5], v[162:163]
	v_mul_f64 v[92:93], v[26:27], v[70:71]
	v_add_f64 v[4:5], v[4:5], v[164:165]
	v_fmac_f64_e32 v[92:93], v[24:25], v[68:69]
	v_add_f64 v[24:25], v[4:5], v[170:171]
	v_add_f64 v[4:5], v[162:163], v[164:165]
	v_mul_f64 v[122:123], v[10:11], v[184:185]
	v_fma_f64 v[26:27], -0.5, v[4:5], v[36:37]
	v_add_f64 v[4:5], v[152:153], -v[168:169]
	v_fmac_f64_e32 v[116:117], v[28:29], v[100:101]
	v_fmac_f64_e32 v[122:123], v[8:9], v[182:183]
	v_fma_f64 v[28:29], s[8:9], v[4:5], v[26:27]
	v_add_f64 v[6:7], v[154:155], -v[156:157]
	v_add_f64 v[8:9], v[160:161], -v[162:163]
	;; [unrolled: 1-line block ×3, first 2 shown]
	v_fmac_f64_e32 v[26:27], s[6:7], v[4:5]
	v_fmac_f64_e32 v[28:29], s[10:11], v[6:7]
	v_add_f64 v[8:9], v[8:9], v[10:11]
	v_fmac_f64_e32 v[26:27], s[2:3], v[6:7]
	v_fmac_f64_e32 v[28:29], s[12:13], v[8:9]
	;; [unrolled: 1-line block ×3, first 2 shown]
	v_add_f64 v[8:9], v[160:161], v[170:171]
	v_fmac_f64_e32 v[36:37], -0.5, v[8:9]
	v_fma_f64 v[34:35], s[6:7], v[6:7], v[36:37]
	v_fmac_f64_e32 v[36:37], s[8:9], v[6:7]
	v_fmac_f64_e32 v[34:35], s[10:11], v[4:5]
	;; [unrolled: 1-line block ×3, first 2 shown]
	v_add_f64 v[4:5], v[38:39], v[152:153]
	v_add_f64 v[4:5], v[4:5], v[154:155]
	;; [unrolled: 1-line block ×3, first 2 shown]
	v_add_f64 v[8:9], v[162:163], -v[160:161]
	v_add_f64 v[10:11], v[164:165], -v[170:171]
	v_add_f64 v[30:31], v[4:5], v[168:169]
	v_add_f64 v[4:5], v[154:155], v[156:157]
	;; [unrolled: 1-line block ×3, first 2 shown]
	v_fma_f64 v[58:59], -0.5, v[4:5], v[38:39]
	v_add_f64 v[4:5], v[160:161], -v[170:171]
	v_fmac_f64_e32 v[34:35], s[12:13], v[8:9]
	v_fmac_f64_e32 v[36:37], s[12:13], v[8:9]
	v_fma_f64 v[42:43], s[6:7], v[4:5], v[58:59]
	v_add_f64 v[6:7], v[162:163], -v[164:165]
	v_add_f64 v[8:9], v[152:153], -v[154:155]
	;; [unrolled: 1-line block ×3, first 2 shown]
	v_fmac_f64_e32 v[58:59], s[8:9], v[4:5]
	v_fmac_f64_e32 v[42:43], s[2:3], v[6:7]
	v_add_f64 v[8:9], v[8:9], v[10:11]
	v_fmac_f64_e32 v[58:59], s[10:11], v[6:7]
	v_fmac_f64_e32 v[42:43], s[12:13], v[8:9]
	;; [unrolled: 1-line block ×3, first 2 shown]
	v_add_f64 v[8:9], v[152:153], v[168:169]
	v_fmac_f64_e32 v[38:39], -0.5, v[8:9]
	v_fma_f64 v[64:65], s[8:9], v[6:7], v[38:39]
	v_fmac_f64_e32 v[38:39], s[6:7], v[6:7]
	v_fmac_f64_e32 v[64:65], s[2:3], v[4:5]
	;; [unrolled: 1-line block ×3, first 2 shown]
	v_add_f64 v[4:5], v[130:131], v[146:147]
	v_add_f64 v[4:5], v[4:5], v[148:149]
	;; [unrolled: 1-line block ×3, first 2 shown]
	v_add_f64 v[8:9], v[154:155], -v[152:153]
	v_add_f64 v[10:11], v[156:157], -v[168:169]
	v_add_f64 v[32:33], v[4:5], v[166:167]
	v_add_f64 v[4:5], v[148:149], v[150:151]
	v_mul_f64 v[96:97], v[18:19], v[188:189]
	v_mul_f64 v[100:101], v[14:15], v[192:193]
	v_add_f64 v[8:9], v[8:9], v[10:11]
	v_fma_f64 v[18:19], -0.5, v[4:5], v[130:131]
	v_add_f64 v[4:5], v[138:139], -v[158:159]
	v_fmac_f64_e32 v[100:101], v[12:13], v[190:191]
	v_fmac_f64_e32 v[64:65], s[12:13], v[8:9]
	;; [unrolled: 1-line block ×3, first 2 shown]
	v_fma_f64 v[6:7], s[8:9], v[4:5], v[18:19]
	v_add_f64 v[8:9], v[140:141], -v[142:143]
	v_add_f64 v[10:11], v[146:147], -v[148:149]
	;; [unrolled: 1-line block ×3, first 2 shown]
	v_fmac_f64_e32 v[18:19], s[6:7], v[4:5]
	v_fmac_f64_e32 v[6:7], s[10:11], v[8:9]
	v_add_f64 v[10:11], v[10:11], v[12:13]
	v_fmac_f64_e32 v[18:19], s[2:3], v[8:9]
	v_fmac_f64_e32 v[6:7], s[12:13], v[10:11]
	;; [unrolled: 1-line block ×3, first 2 shown]
	v_add_f64 v[10:11], v[146:147], v[166:167]
	v_fmac_f64_e32 v[130:131], -0.5, v[10:11]
	v_fma_f64 v[22:23], s[6:7], v[8:9], v[130:131]
	v_fmac_f64_e32 v[130:131], s[8:9], v[8:9]
	v_fmac_f64_e32 v[22:23], s[10:11], v[4:5]
	;; [unrolled: 1-line block ×3, first 2 shown]
	v_add_f64 v[4:5], v[132:133], v[138:139]
	v_add_f64 v[4:5], v[4:5], v[140:141]
	;; [unrolled: 1-line block ×3, first 2 shown]
	v_add_f64 v[10:11], v[148:149], -v[146:147]
	v_add_f64 v[12:13], v[150:151], -v[166:167]
	v_add_f64 v[66:67], v[4:5], v[158:159]
	v_add_f64 v[4:5], v[140:141], v[142:143]
	;; [unrolled: 1-line block ×3, first 2 shown]
	v_fma_f64 v[40:41], -0.5, v[4:5], v[132:133]
	v_add_f64 v[4:5], v[146:147], -v[166:167]
	v_fmac_f64_e32 v[22:23], s[12:13], v[10:11]
	v_fmac_f64_e32 v[130:131], s[12:13], v[10:11]
	v_fma_f64 v[10:11], s[6:7], v[4:5], v[40:41]
	v_add_f64 v[8:9], v[148:149], -v[150:151]
	v_add_f64 v[12:13], v[138:139], -v[140:141]
	;; [unrolled: 1-line block ×3, first 2 shown]
	v_fmac_f64_e32 v[40:41], s[8:9], v[4:5]
	v_fmac_f64_e32 v[10:11], s[2:3], v[8:9]
	v_add_f64 v[12:13], v[12:13], v[14:15]
	v_fmac_f64_e32 v[40:41], s[10:11], v[8:9]
	v_fmac_f64_e32 v[10:11], s[12:13], v[12:13]
	;; [unrolled: 1-line block ×3, first 2 shown]
	v_add_f64 v[12:13], v[138:139], v[158:159]
	v_fmac_f64_e32 v[132:133], -0.5, v[12:13]
	v_fma_f64 v[68:69], s[8:9], v[8:9], v[132:133]
	v_add_f64 v[12:13], v[140:141], -v[138:139]
	v_add_f64 v[14:15], v[142:143], -v[158:159]
	v_fmac_f64_e32 v[132:133], s[6:7], v[8:9]
	v_add_f64 v[12:13], v[12:13], v[14:15]
	v_fmac_f64_e32 v[132:133], s[10:11], v[4:5]
	v_fmac_f64_e32 v[68:69], s[2:3], v[4:5]
	;; [unrolled: 1-line block ×4, first 2 shown]
	v_mul_f64 v[140:141], v[132:133], s[8:9]
	v_mul_f64 v[132:133], v[132:133], s[16:17]
	;; [unrolled: 1-line block ×3, first 2 shown]
	v_fmac_f64_e32 v[140:141], s[16:17], v[130:131]
	v_mul_f64 v[146:147], v[10:11], s[18:19]
	v_fmac_f64_e32 v[132:133], s[6:7], v[130:131]
	v_mul_f64 v[130:131], v[40:41], s[14:15]
	;; [unrolled: 2-line block ×4, first 2 shown]
	v_fmac_f64_e32 v[130:131], s[2:3], v[18:19]
	v_add_f64 v[12:13], v[24:25], v[32:33]
	v_mul_f64 v[70:71], v[10:11], s[10:11]
	v_add_f64 v[4:5], v[34:35], v[138:139]
	v_fmac_f64_e32 v[142:143], s[14:15], v[18:19]
	v_add_f64 v[14:15], v[30:31], v[66:67]
	v_add_f64 v[10:11], v[42:43], v[146:147]
	v_fmac_f64_e32 v[68:69], s[6:7], v[22:23]
	v_add_f64 v[22:23], v[38:39], v[132:133]
	v_add_f64 v[18:19], v[58:59], v[130:131]
	v_add_f64 v[32:33], v[24:25], -v[32:33]
	v_add_f64 v[24:25], v[34:35], -v[138:139]
	;; [unrolled: 1-line block ×6, first 2 shown]
	v_add_f64 v[58:59], v[76:77], v[134:135]
	v_add_f64 v[58:59], v[58:59], v[144:145]
	;; [unrolled: 1-line block ×3, first 2 shown]
	v_fmac_f64_e32 v[96:97], v[16:17], v[186:187]
	v_fmac_f64_e32 v[70:71], s[18:19], v[6:7]
	v_add_f64 v[20:21], v[36:37], v[140:141]
	v_add_f64 v[16:17], v[26:27], v[142:143]
	;; [unrolled: 1-line block ×3, first 2 shown]
	v_add_f64 v[40:41], v[36:37], -v[140:141]
	v_add_f64 v[36:37], v[26:27], -v[142:143]
	;; [unrolled: 1-line block ×3, first 2 shown]
	v_add_f64 v[64:65], v[58:59], v[74:75]
	v_add_f64 v[58:59], v[144:145], v[72:73]
	v_fma_f64 v[66:67], -0.5, v[58:59], v[76:77]
	v_add_f64 v[58:59], v[80:81], -v[56:57]
	v_add_f64 v[8:9], v[28:29], v[70:71]
	v_add_f64 v[28:29], v[28:29], -v[70:71]
	v_fma_f64 v[68:69], s[8:9], v[58:59], v[66:67]
	v_add_f64 v[70:71], v[136:137], -v[62:63]
	v_add_f64 v[130:131], v[134:135], -v[144:145]
	;; [unrolled: 1-line block ×3, first 2 shown]
	v_fmac_f64_e32 v[66:67], s[6:7], v[58:59]
	v_fmac_f64_e32 v[68:69], s[10:11], v[70:71]
	v_add_f64 v[130:131], v[130:131], v[132:133]
	v_fmac_f64_e32 v[66:67], s[2:3], v[70:71]
	v_fmac_f64_e32 v[68:69], s[12:13], v[130:131]
	;; [unrolled: 1-line block ×3, first 2 shown]
	v_add_f64 v[130:131], v[134:135], v[74:75]
	v_fmac_f64_e32 v[76:77], -0.5, v[130:131]
	v_fma_f64 v[132:133], s[6:7], v[70:71], v[76:77]
	v_fmac_f64_e32 v[76:77], s[8:9], v[70:71]
	v_fmac_f64_e32 v[132:133], s[10:11], v[58:59]
	v_fmac_f64_e32 v[76:77], s[2:3], v[58:59]
	v_add_f64 v[58:59], v[78:79], v[80:81]
	v_add_f64 v[58:59], v[58:59], v[136:137]
	v_add_f64 v[130:131], v[144:145], -v[134:135]
	v_add_f64 v[138:139], v[72:73], -v[74:75]
	v_add_f64 v[58:59], v[58:59], v[62:63]
	v_add_f64 v[130:131], v[130:131], v[138:139]
	;; [unrolled: 1-line block ×4, first 2 shown]
	v_fmac_f64_e32 v[132:133], s[12:13], v[130:131]
	v_fmac_f64_e32 v[76:77], s[12:13], v[130:131]
	v_fma_f64 v[130:131], -0.5, v[58:59], v[78:79]
	v_add_f64 v[58:59], v[134:135], -v[74:75]
	v_fma_f64 v[134:135], s[6:7], v[58:59], v[130:131]
	v_add_f64 v[72:73], v[144:145], -v[72:73]
	v_add_f64 v[74:75], v[80:81], -v[136:137]
	;; [unrolled: 1-line block ×3, first 2 shown]
	v_fmac_f64_e32 v[130:131], s[8:9], v[58:59]
	v_fmac_f64_e32 v[134:135], s[2:3], v[72:73]
	v_add_f64 v[74:75], v[74:75], v[138:139]
	v_fmac_f64_e32 v[130:131], s[10:11], v[72:73]
	v_fmac_f64_e32 v[134:135], s[12:13], v[74:75]
	;; [unrolled: 1-line block ×3, first 2 shown]
	v_add_f64 v[74:75], v[80:81], v[56:57]
	v_fmac_f64_e32 v[78:79], -0.5, v[74:75]
	v_fma_f64 v[138:139], s[8:9], v[72:73], v[78:79]
	v_add_f64 v[74:75], v[136:137], -v[80:81]
	v_add_f64 v[56:57], v[62:63], -v[56:57]
	v_fmac_f64_e32 v[78:79], s[6:7], v[72:73]
	v_fmac_f64_e32 v[138:139], s[2:3], v[58:59]
	v_add_f64 v[56:57], v[74:75], v[56:57]
	v_fmac_f64_e32 v[78:79], s[10:11], v[58:59]
	v_fmac_f64_e32 v[138:139], s[12:13], v[56:57]
	;; [unrolled: 1-line block ×3, first 2 shown]
	v_add_f64 v[56:57], v[108:109], v[82:83]
	v_add_f64 v[56:57], v[56:57], v[48:49]
	;; [unrolled: 1-line block ×5, first 2 shown]
	v_fma_f64 v[58:59], -0.5, v[56:57], v[108:109]
	v_add_f64 v[56:57], v[44:45], -v[52:53]
	v_fma_f64 v[62:63], s[8:9], v[56:57], v[58:59]
	v_add_f64 v[74:75], v[46:47], -v[50:51]
	v_add_f64 v[80:81], v[82:83], -v[48:49]
	v_add_f64 v[136:137], v[54:55], -v[60:61]
	v_fmac_f64_e32 v[58:59], s[6:7], v[56:57]
	v_fmac_f64_e32 v[62:63], s[10:11], v[74:75]
	v_add_f64 v[80:81], v[80:81], v[136:137]
	v_fmac_f64_e32 v[58:59], s[2:3], v[74:75]
	v_fmac_f64_e32 v[62:63], s[12:13], v[80:81]
	;; [unrolled: 1-line block ×3, first 2 shown]
	v_add_f64 v[80:81], v[82:83], v[54:55]
	v_fmac_f64_e32 v[108:109], -0.5, v[80:81]
	v_fma_f64 v[80:81], s[6:7], v[74:75], v[108:109]
	v_fmac_f64_e32 v[108:109], s[8:9], v[74:75]
	v_fmac_f64_e32 v[80:81], s[10:11], v[56:57]
	;; [unrolled: 1-line block ×3, first 2 shown]
	v_add_f64 v[56:57], v[110:111], v[44:45]
	v_add_f64 v[56:57], v[56:57], v[46:47]
	v_add_f64 v[136:137], v[48:49], -v[82:83]
	v_add_f64 v[140:141], v[60:61], -v[54:55]
	v_add_f64 v[56:57], v[56:57], v[50:51]
	v_add_f64 v[136:137], v[136:137], v[140:141]
	v_add_f64 v[74:75], v[56:57], v[52:53]
	v_add_f64 v[56:57], v[46:47], v[50:51]
	v_fmac_f64_e32 v[80:81], s[12:13], v[136:137]
	v_fmac_f64_e32 v[108:109], s[12:13], v[136:137]
	v_fma_f64 v[136:137], -0.5, v[56:57], v[110:111]
	v_add_f64 v[54:55], v[82:83], -v[54:55]
	v_fma_f64 v[82:83], s[6:7], v[54:55], v[136:137]
	v_add_f64 v[48:49], v[48:49], -v[60:61]
	v_add_f64 v[56:57], v[44:45], -v[46:47]
	;; [unrolled: 1-line block ×3, first 2 shown]
	v_fmac_f64_e32 v[136:137], s[8:9], v[54:55]
	v_fmac_f64_e32 v[82:83], s[2:3], v[48:49]
	v_add_f64 v[56:57], v[56:57], v[60:61]
	v_fmac_f64_e32 v[136:137], s[10:11], v[48:49]
	v_fmac_f64_e32 v[82:83], s[12:13], v[56:57]
	;; [unrolled: 1-line block ×3, first 2 shown]
	v_add_f64 v[56:57], v[44:45], v[52:53]
	v_fmac_f64_e32 v[110:111], -0.5, v[56:57]
	v_fma_f64 v[140:141], s[8:9], v[48:49], v[110:111]
	v_add_f64 v[44:45], v[46:47], -v[44:45]
	v_add_f64 v[46:47], v[50:51], -v[52:53]
	v_fmac_f64_e32 v[110:111], s[6:7], v[48:49]
	v_add_f64 v[44:45], v[44:45], v[46:47]
	v_fmac_f64_e32 v[110:111], s[10:11], v[54:55]
	v_fmac_f64_e32 v[110:111], s[12:13], v[44:45]
	;; [unrolled: 1-line block ×3, first 2 shown]
	v_mul_f64 v[142:143], v[82:83], s[10:11]
	v_mul_f64 v[146:147], v[110:111], s[8:9]
	;; [unrolled: 1-line block ×4, first 2 shown]
	v_fmac_f64_e32 v[140:141], s[12:13], v[44:45]
	v_fmac_f64_e32 v[146:147], s[16:17], v[108:109]
	v_fmac_f64_e32 v[82:83], s[2:3], v[62:63]
	v_fmac_f64_e32 v[110:111], s[6:7], v[108:109]
	v_mul_f64 v[108:109], v[136:137], s[14:15]
	v_fmac_f64_e32 v[142:143], s[18:19], v[62:63]
	v_mul_f64 v[144:145], v[140:141], s[8:9]
	v_mul_f64 v[148:149], v[136:137], s[10:11]
	v_add_f64 v[54:55], v[70:71], v[74:75]
	v_add_f64 v[50:51], v[134:135], v[82:83]
	v_mul_f64 v[140:141], v[140:141], s[12:13]
	v_add_f64 v[62:63], v[78:79], v[110:111]
	v_fmac_f64_e32 v[108:109], s[2:3], v[58:59]
	v_add_f64 v[74:75], v[70:71], -v[74:75]
	v_add_f64 v[70:71], v[134:135], -v[82:83]
	;; [unrolled: 1-line block ×3, first 2 shown]
	v_add_f64 v[110:111], v[118:119], v[120:121]
	v_fmac_f64_e32 v[144:145], s[12:13], v[80:81]
	v_fmac_f64_e32 v[148:149], s[14:15], v[58:59]
	;; [unrolled: 1-line block ×3, first 2 shown]
	v_add_f64 v[58:59], v[130:131], v[108:109]
	v_add_f64 v[78:79], v[130:131], -v[108:109]
	v_fma_f64 v[110:111], -0.5, v[110:111], v[0:1]
	v_add_f64 v[130:131], v[102:103], -v[114:115]
	v_add_f64 v[52:53], v[64:65], v[72:73]
	v_add_f64 v[44:45], v[132:133], v[144:145]
	;; [unrolled: 1-line block ×5, first 2 shown]
	v_add_f64 v[72:73], v[64:65], -v[72:73]
	v_add_f64 v[64:65], v[132:133], -v[144:145]
	;; [unrolled: 1-line block ×5, first 2 shown]
	v_fma_f64 v[132:133], s[8:9], v[130:131], v[110:111]
	v_add_f64 v[134:135], v[106:107], -v[112:113]
	v_add_f64 v[136:137], v[116:117], -v[118:119]
	;; [unrolled: 1-line block ×3, first 2 shown]
	v_fmac_f64_e32 v[110:111], s[6:7], v[130:131]
	v_fmac_f64_e32 v[132:133], s[10:11], v[134:135]
	v_add_f64 v[136:137], v[136:137], v[138:139]
	v_fmac_f64_e32 v[110:111], s[2:3], v[134:135]
	v_fmac_f64_e32 v[132:133], s[12:13], v[136:137]
	;; [unrolled: 1-line block ×3, first 2 shown]
	v_add_f64 v[136:137], v[116:117], v[122:123]
	v_add_f64 v[108:109], v[0:1], v[116:117]
	v_fmac_f64_e32 v[0:1], -0.5, v[136:137]
	v_fma_f64 v[136:137], s[6:7], v[134:135], v[0:1]
	v_fmac_f64_e32 v[0:1], s[8:9], v[134:135]
	v_fmac_f64_e32 v[136:137], s[10:11], v[130:131]
	;; [unrolled: 1-line block ×3, first 2 shown]
	v_add_f64 v[130:131], v[2:3], v[102:103]
	v_add_f64 v[130:131], v[130:131], v[106:107]
	v_add_f64 v[130:131], v[130:131], v[112:113]
	v_add_f64 v[108:109], v[108:109], v[118:119]
	v_add_f64 v[138:139], v[118:119], -v[116:117]
	v_add_f64 v[140:141], v[120:121], -v[122:123]
	v_add_f64 v[134:135], v[130:131], v[114:115]
	v_add_f64 v[130:131], v[106:107], v[112:113]
	;; [unrolled: 1-line block ×4, first 2 shown]
	v_fma_f64 v[130:131], -0.5, v[130:131], v[2:3]
	v_add_f64 v[116:117], v[116:117], -v[122:123]
	v_add_f64 v[108:109], v[108:109], v[122:123]
	v_fmac_f64_e32 v[136:137], s[12:13], v[138:139]
	v_fmac_f64_e32 v[0:1], s[12:13], v[138:139]
	v_fma_f64 v[122:123], s[6:7], v[116:117], v[130:131]
	v_add_f64 v[120:121], v[118:119], -v[120:121]
	v_add_f64 v[118:119], v[102:103], -v[106:107]
	;; [unrolled: 1-line block ×3, first 2 shown]
	v_fmac_f64_e32 v[130:131], s[8:9], v[116:117]
	v_fmac_f64_e32 v[122:123], s[2:3], v[120:121]
	v_add_f64 v[118:119], v[118:119], v[138:139]
	v_fmac_f64_e32 v[130:131], s[10:11], v[120:121]
	v_fmac_f64_e32 v[122:123], s[12:13], v[118:119]
	v_fmac_f64_e32 v[130:131], s[12:13], v[118:119]
	v_add_f64 v[118:119], v[102:103], v[114:115]
	v_fmac_f64_e32 v[2:3], -0.5, v[118:119]
	v_fma_f64 v[118:119], s[8:9], v[120:121], v[2:3]
	v_add_f64 v[102:103], v[106:107], -v[102:103]
	v_add_f64 v[106:107], v[112:113], -v[114:115]
	v_fmac_f64_e32 v[2:3], s[6:7], v[120:121]
	v_fmac_f64_e32 v[118:119], s[2:3], v[116:117]
	v_add_f64 v[102:103], v[102:103], v[106:107]
	v_fmac_f64_e32 v[2:3], s[10:11], v[116:117]
	v_fmac_f64_e32 v[118:119], s[12:13], v[102:103]
	;; [unrolled: 1-line block ×3, first 2 shown]
	v_add_f64 v[102:103], v[98:99], v[92:93]
	v_add_f64 v[102:103], v[102:103], v[94:95]
	;; [unrolled: 1-line block ×5, first 2 shown]
	v_fma_f64 v[112:113], -0.5, v[102:103], v[98:99]
	v_add_f64 v[102:103], v[84:85], -v[90:91]
	v_fma_f64 v[114:115], s[8:9], v[102:103], v[112:113]
	v_add_f64 v[116:117], v[86:87], -v[88:89]
	v_add_f64 v[120:121], v[92:93], -v[94:95]
	;; [unrolled: 1-line block ×3, first 2 shown]
	v_fmac_f64_e32 v[112:113], s[6:7], v[102:103]
	v_fmac_f64_e32 v[114:115], s[10:11], v[116:117]
	v_add_f64 v[120:121], v[120:121], v[138:139]
	v_fmac_f64_e32 v[112:113], s[2:3], v[116:117]
	v_fmac_f64_e32 v[114:115], s[12:13], v[120:121]
	;; [unrolled: 1-line block ×3, first 2 shown]
	v_add_f64 v[120:121], v[92:93], v[100:101]
	v_fmac_f64_e32 v[98:99], -0.5, v[120:121]
	v_fma_f64 v[120:121], s[6:7], v[116:117], v[98:99]
	v_fmac_f64_e32 v[98:99], s[8:9], v[116:117]
	v_fmac_f64_e32 v[120:121], s[10:11], v[102:103]
	;; [unrolled: 1-line block ×3, first 2 shown]
	v_add_f64 v[102:103], v[104:105], v[84:85]
	v_add_f64 v[138:139], v[94:95], -v[92:93]
	v_add_f64 v[140:141], v[96:97], -v[100:101]
	v_add_f64 v[102:103], v[102:103], v[86:87]
	v_add_f64 v[138:139], v[138:139], v[140:141]
	;; [unrolled: 1-line block ×3, first 2 shown]
	v_fmac_f64_e32 v[120:121], s[12:13], v[138:139]
	v_fmac_f64_e32 v[98:99], s[12:13], v[138:139]
	v_add_f64 v[138:139], v[102:103], v[90:91]
	v_add_f64 v[102:103], v[86:87], v[88:89]
	v_fma_f64 v[116:117], -0.5, v[102:103], v[104:105]
	v_add_f64 v[92:93], v[92:93], -v[100:101]
	v_fma_f64 v[102:103], s[6:7], v[92:93], v[116:117]
	v_add_f64 v[94:95], v[94:95], -v[96:97]
	v_add_f64 v[96:97], v[84:85], -v[86:87]
	;; [unrolled: 1-line block ×3, first 2 shown]
	v_fmac_f64_e32 v[116:117], s[8:9], v[92:93]
	v_fmac_f64_e32 v[102:103], s[2:3], v[94:95]
	v_add_f64 v[96:97], v[96:97], v[100:101]
	v_fmac_f64_e32 v[116:117], s[10:11], v[94:95]
	v_fmac_f64_e32 v[102:103], s[12:13], v[96:97]
	;; [unrolled: 1-line block ×3, first 2 shown]
	v_add_f64 v[96:97], v[84:85], v[90:91]
	v_fmac_f64_e32 v[104:105], -0.5, v[96:97]
	v_fma_f64 v[140:141], s[8:9], v[94:95], v[104:105]
	v_add_f64 v[84:85], v[86:87], -v[84:85]
	v_add_f64 v[86:87], v[88:89], -v[90:91]
	v_fmac_f64_e32 v[140:141], s[2:3], v[92:93]
	v_add_f64 v[84:85], v[84:85], v[86:87]
	v_fmac_f64_e32 v[104:105], s[6:7], v[94:95]
	v_fmac_f64_e32 v[140:141], s[12:13], v[84:85]
	;; [unrolled: 1-line block ×4, first 2 shown]
	v_mul_f64 v[144:145], v[140:141], s[8:9]
	v_mul_f64 v[140:141], v[140:141], s[12:13]
	v_fmac_f64_e32 v[144:145], s[12:13], v[120:121]
	v_fmac_f64_e32 v[140:141], s[6:7], v[120:121]
	v_mul_f64 v[152:153], v[104:105], s[16:17]
	v_mul_f64 v[120:121], v[116:117], s[14:15]
	;; [unrolled: 1-line block ×4, first 2 shown]
	v_fmac_f64_e32 v[152:153], s[6:7], v[98:99]
	v_fmac_f64_e32 v[120:121], s[2:3], v[112:113]
	v_add_f64 v[48:49], v[68:69], v[142:143]
	v_add_f64 v[68:69], v[68:69], -v[142:143]
	v_add_f64 v[92:93], v[108:109], v[106:107]
	v_mul_f64 v[142:143], v[102:103], s[10:11]
	v_fmac_f64_e32 v[146:147], s[16:17], v[98:99]
	v_fmac_f64_e32 v[148:149], s[14:15], v[112:113]
	v_mul_f64 v[150:151], v[102:103], s[18:19]
	v_add_f64 v[86:87], v[118:119], v[140:141]
	v_add_f64 v[102:103], v[2:3], v[152:153]
	v_add_f64 v[98:99], v[130:131], v[120:121]
	v_add_f64 v[112:113], v[108:109], -v[106:107]
	v_add_f64 v[106:107], v[118:119], -v[140:141]
	;; [unrolled: 1-line block ×4, first 2 shown]
	v_mul_u32_u24_e32 v120, 0x12c0, v176
	v_lshlrev_b32_sdwa v121, v175, v177 dst_sel:DWORD dst_unused:UNUSED_PAD src0_sel:DWORD src1_sel:BYTE_0
	v_add3_u32 v120, 0, v120, v121
	s_barrier
	ds_write_b128 v120, v[12:15]
	ds_write_b128 v120, v[8:11] offset:480
	ds_write_b128 v120, v[4:7] offset:960
	;; [unrolled: 1-line block ×9, first 2 shown]
	v_mul_u32_u24_e32 v4, 0x12c0, v179
	v_lshlrev_b32_sdwa v5, v175, v178 dst_sel:DWORD dst_unused:UNUSED_PAD src0_sel:DWORD src1_sel:BYTE_0
	v_add3_u32 v4, 0, v4, v5
	ds_write_b128 v4, v[52:55]
	ds_write_b128 v4, v[48:51] offset:480
	ds_write_b128 v4, v[44:47] offset:960
	;; [unrolled: 1-line block ×9, first 2 shown]
	v_mul_u32_u24_e32 v4, 0x12c0, v180
	v_lshlrev_b32_e32 v5, 4, v181
	v_fmac_f64_e32 v[142:143], s[18:19], v[114:115]
	v_add_f64 v[100:101], v[0:1], v[146:147]
	v_add_f64 v[94:95], v[134:135], v[138:139]
	v_fmac_f64_e32 v[150:151], s[2:3], v[114:115]
	v_add_f64 v[116:117], v[0:1], -v[146:147]
	v_add_f64 v[0:1], v[110:111], -v[148:149]
	v_add3_u32 v4, 0, v4, v5
	v_add_f64 v[88:89], v[132:133], v[142:143]
	v_add_f64 v[84:85], v[136:137], v[144:145]
	;; [unrolled: 1-line block ×4, first 2 shown]
	v_add_f64 v[108:109], v[132:133], -v[142:143]
	v_add_f64 v[104:105], v[136:137], -v[144:145]
	;; [unrolled: 1-line block ×4, first 2 shown]
	ds_write_b128 v4, v[92:95]
	ds_write_b128 v4, v[88:91] offset:480
	ds_write_b128 v4, v[84:87] offset:960
	;; [unrolled: 1-line block ×9, first 2 shown]
	v_mul_u32_u24_e32 v0, 9, v126
	v_lshlrev_b32_e32 v0, 4, v0
	v_mov_b32_e32 v1, v129
	v_lshl_add_u64 v[92:93], s[4:5], 0, v[0:1]
	v_add_co_u32_e32 v12, vcc, s25, v92
	s_waitcnt lgkmcnt(0)
	s_nop 0
	v_addc_co_u32_e32 v13, vcc, 0, v93, vcc
	s_barrier
	global_load_dwordx4 v[80:83], v[12:13], off offset:544
	v_lshl_add_u64 v[0:1], v[92:93], 0, s[22:23]
	global_load_dwordx4 v[84:87], v[0:1], off offset:16
	global_load_dwordx4 v[112:115], v[0:1], off offset:32
	;; [unrolled: 1-line block ×4, first 2 shown]
	v_lshl_add_u64 v[0:1], v[92:93], 0, s[20:21]
	global_load_dwordx4 v[72:75], v[0:1], off offset:16
	global_load_dwordx4 v[24:27], v[0:1], off offset:32
	ds_read_b128 v[132:135], v173
	ds_read_b128 v[88:91], v174
	global_load_dwordx4 v[20:23], v[0:1], off offset:48
	v_add_co_u32_e32 v120, vcc, s24, v92
	ds_read_b128 v[0:3], v172 offset:1600
	ds_read_b128 v[8:11], v172 offset:6400
	;; [unrolled: 1-line block ×4, first 2 shown]
	global_load_dwordx4 v[68:71], v[12:13], off offset:672
	v_addc_co_u32_e32 v121, vcc, 0, v93, vcc
	ds_read_b128 v[108:111], v172 offset:28800
	ds_read_b128 v[12:15], v172 offset:30400
	global_load_dwordx4 v[36:39], v[120:121], off offset:2656
	v_lshl_add_u64 v[16:17], v[92:93], 0, s[26:27]
	global_load_dwordx4 v[56:59], v[16:17], off offset:16
	ds_read_b128 v[100:103], v172 offset:33600
	ds_read_b128 v[44:47], v172 offset:35200
	;; [unrolled: 1-line block ×4, first 2 shown]
	global_load_dwordx4 v[52:55], v[16:17], off offset:48
	global_load_dwordx4 v[60:63], v[16:17], off offset:32
	ds_read_b128 v[138:141], v172 offset:14400
	ds_read_b128 v[32:35], v172 offset:12800
	;; [unrolled: 1-line block ×6, first 2 shown]
	s_mov_b64 s[26:27], 0x4aa0
	v_lshl_add_u64 v[122:123], v[92:93], 0, s[26:27]
	global_load_dwordx4 v[92:95], v[122:123], off offset:16
	s_waitcnt vmcnt(12) lgkmcnt(14)
	v_mul_f64 v[152:153], v[90:91], v[86:87]
	v_mul_f64 v[130:131], v[134:135], v[82:83]
	;; [unrolled: 1-line block ×3, first 2 shown]
	v_fmac_f64_e32 v[130:131], v[132:133], v[80:81]
	v_fma_f64 v[132:133], v[134:135], v[80:81], -v[82:83]
	global_load_dwordx4 v[80:83], v[120:121], off offset:2720
	v_mul_f64 v[86:87], v[88:89], v[86:87]
	s_waitcnt vmcnt(12) lgkmcnt(5)
	v_mul_f64 v[136:137], v[140:141], v[114:115]
	v_mul_f64 v[114:115], v[138:139], v[114:115]
	v_fmac_f64_e32 v[152:153], v[88:89], v[84:85]
	v_fma_f64 v[142:143], v[90:91], v[84:85], -v[86:87]
	global_load_dwordx4 v[84:87], v[122:123], off offset:48
	global_load_dwordx4 v[88:91], v[122:123], off offset:32
	v_fmac_f64_e32 v[136:137], v[138:139], v[112:113]
	v_fma_f64 v[134:135], v[140:141], v[112:113], -v[114:115]
	global_load_dwordx4 v[112:115], v[120:121], off offset:2784
	v_mul_u32_u24_e32 v120, 9, v128
	v_lshlrev_b32_e32 v128, 4, v120
	v_lshl_add_u64 v[140:141], s[4:5], 0, v[128:129]
	v_add_co_u32_e32 v138, vcc, s25, v140
	s_waitcnt vmcnt(14)
	v_mul_f64 v[156:157], v[78:79], v[50:51]
	v_addc_co_u32_e32 v139, vcc, 0, v141, vcc
	v_mul_f64 v[50:51], v[76:77], v[50:51]
	v_lshl_add_u64 v[144:145], v[140:141], 0, s[22:23]
	s_waitcnt vmcnt(13) lgkmcnt(3)
	v_mul_f64 v[158:159], v[118:119], v[66:67]
	v_mul_f64 v[66:67], v[116:117], v[66:67]
	s_waitcnt vmcnt(12)
	v_mul_f64 v[166:167], v[110:111], v[74:75]
	v_mul_f64 v[74:75], v[108:109], v[74:75]
	global_load_dwordx4 v[120:123], v[138:139], off offset:544
	v_fmac_f64_e32 v[156:157], v[76:77], v[48:49]
	v_fma_f64 v[162:163], v[78:79], v[48:49], -v[50:51]
	global_load_dwordx4 v[48:51], v[144:145], off offset:32
	global_load_dwordx4 v[76:79], v[144:145], off offset:16
	v_fmac_f64_e32 v[158:159], v[116:117], v[64:65]
	v_fma_f64 v[154:155], v[118:119], v[64:65], -v[66:67]
	v_fmac_f64_e32 v[166:167], v[108:109], v[72:73]
	global_load_dwordx4 v[64:67], v[144:145], off offset:48
	v_fma_f64 v[164:165], v[110:111], v[72:73], -v[74:75]
	global_load_dwordx4 v[108:111], v[138:139], off offset:608
	v_lshl_add_u64 v[72:73], v[140:141], 0, s[20:21]
	global_load_dwordx4 v[174:177], v[72:73], off offset:32
	global_load_dwordx4 v[178:181], v[72:73], off offset:16
	;; [unrolled: 1-line block ×4, first 2 shown]
	s_waitcnt vmcnt(19) lgkmcnt(1)
	v_mul_f64 v[170:171], v[106:107], v[22:23]
	v_mul_f64 v[22:23], v[104:105], v[22:23]
	v_fmac_f64_e32 v[170:171], v[104:105], v[20:21]
	v_fma_f64 v[168:169], v[106:107], v[20:21], -v[22:23]
	s_waitcnt vmcnt(18)
	v_mul_f64 v[22:23], v[98:99], v[70:71]
	v_mul_f64 v[20:21], v[96:97], v[70:71]
	v_fmac_f64_e32 v[22:23], v[96:97], v[68:69]
	v_fma_f64 v[20:21], v[98:99], v[68:69], -v[20:21]
	s_waitcnt vmcnt(17)
	v_mul_f64 v[68:69], v[10:11], v[38:39]
	v_mul_f64 v[160:161], v[102:103], v[26:27]
	;; [unrolled: 1-line block ×3, first 2 shown]
	v_fmac_f64_e32 v[68:69], v[8:9], v[36:37]
	v_mul_f64 v[8:9], v[8:9], v[38:39]
	v_fmac_f64_e32 v[160:161], v[100:101], v[24:25]
	v_fma_f64 v[24:25], v[102:103], v[24:25], -v[26:27]
	ds_read_b128 v[72:75], v172 offset:11200
	ds_read_b128 v[100:103], v172 offset:8000
	v_fma_f64 v[70:71], v[10:11], v[36:37], -v[8:9]
	ds_read_b128 v[8:11], v172 offset:16000
	ds_read_b128 v[116:119], v172 offset:17600
	s_waitcnt vmcnt(16) lgkmcnt(3)
	v_mul_f64 v[144:145], v[74:75], v[58:59]
	v_fmac_f64_e32 v[144:145], v[72:73], v[56:57]
	v_mul_f64 v[26:27], v[72:73], v[58:59]
	s_waitcnt vmcnt(14) lgkmcnt(1)
	v_mul_f64 v[72:73], v[10:11], v[62:63]
	v_fmac_f64_e32 v[72:73], v[8:9], v[60:61]
	v_mul_f64 v[8:9], v[8:9], v[62:63]
	v_fma_f64 v[138:139], v[74:75], v[56:57], -v[26:27]
	v_fma_f64 v[56:57], v[10:11], v[60:61], -v[8:9]
	ds_read_b128 v[8:11], v172 offset:25600
	v_mul_f64 v[146:147], v[6:7], v[54:55]
	v_fmac_f64_e32 v[146:147], v[4:5], v[52:53]
	v_mul_f64 v[4:5], v[4:5], v[54:55]
	v_fma_f64 v[140:141], v[6:7], v[52:53], -v[4:5]
	ds_read_b128 v[4:7], v172 offset:27200
	s_waitcnt vmcnt(13)
	v_mul_f64 v[148:149], v[14:15], v[94:95]
	v_fmac_f64_e32 v[148:149], v[12:13], v[92:93]
	s_waitcnt vmcnt(12) lgkmcnt(1)
	v_mul_f64 v[60:61], v[10:11], v[82:83]
	v_fmac_f64_e32 v[60:61], v[8:9], v[80:81]
	v_mul_f64 v[8:9], v[8:9], v[82:83]
	v_fma_f64 v[52:53], v[10:11], v[80:81], -v[8:9]
	v_mul_f64 v[8:9], v[12:13], v[94:95]
	v_fma_f64 v[80:81], v[14:15], v[92:93], -v[8:9]
	ds_read_b128 v[8:11], v172 offset:40000
	ds_read_b128 v[12:15], v172 offset:41600
	s_waitcnt vmcnt(10)
	v_mul_f64 v[26:27], v[44:45], v[90:91]
	v_mul_f64 v[62:63], v[46:47], v[90:91]
	v_fma_f64 v[54:55], v[46:47], v[88:89], -v[26:27]
	s_waitcnt lgkmcnt(1)
	v_mul_f64 v[150:151], v[10:11], v[86:87]
	v_fmac_f64_e32 v[150:151], v[8:9], v[84:85]
	v_mul_f64 v[8:9], v[8:9], v[86:87]
	v_fma_f64 v[82:83], v[10:11], v[84:85], -v[8:9]
	ds_read_b128 v[36:39], v127
	ds_read_b128 v[8:11], v172 offset:32000
	s_waitcnt vmcnt(9)
	v_mul_f64 v[74:75], v[42:43], v[114:115]
	v_mul_f64 v[26:27], v[40:41], v[114:115]
	v_fmac_f64_e32 v[62:63], v[44:45], v[88:89]
	v_fmac_f64_e32 v[74:75], v[40:41], v[112:113]
	v_fma_f64 v[58:59], v[42:43], v[112:113], -v[26:27]
	ds_read_b128 v[40:43], v172
	ds_read_b128 v[44:47], v172 offset:46400
	s_waitcnt lgkmcnt(0)
	s_barrier
	s_waitcnt vmcnt(8)
	v_mul_f64 v[26:27], v[100:101], v[122:123]
	v_mul_f64 v[98:99], v[102:103], v[122:123]
	v_fma_f64 v[102:103], v[102:103], v[120:121], -v[26:27]
	s_waitcnt vmcnt(6)
	v_mul_f64 v[26:27], v[32:33], v[78:79]
	v_fma_f64 v[104:105], v[34:35], v[76:77], -v[26:27]
	v_mul_f64 v[26:27], v[116:117], v[50:51]
	v_mul_f64 v[90:91], v[118:119], v[50:51]
	s_waitcnt vmcnt(5)
	v_mul_f64 v[114:115], v[30:31], v[66:67]
	v_fma_f64 v[84:85], v[118:119], v[48:49], -v[26:27]
	s_waitcnt vmcnt(4)
	v_mul_f64 v[92:93], v[6:7], v[110:111]
	v_fmac_f64_e32 v[92:93], v[4:5], v[108:109]
	v_mul_f64 v[4:5], v[4:5], v[110:111]
	v_fma_f64 v[86:87], v[6:7], v[108:109], -v[4:5]
	s_waitcnt vmcnt(2)
	v_mul_f64 v[4:5], v[8:9], v[180:181]
	v_fma_f64 v[108:109], v[10:11], v[178:179], -v[4:5]
	v_mul_f64 v[4:5], v[16:17], v[176:177]
	v_fma_f64 v[88:89], v[18:19], v[174:175], -v[4:5]
	s_waitcnt vmcnt(1)
	v_mul_f64 v[4:5], v[12:13], v[184:185]
	v_fma_f64 v[110:111], v[14:15], v[182:183], -v[4:5]
	s_waitcnt vmcnt(0)
	v_mul_f64 v[4:5], v[44:45], v[188:189]
	v_fma_f64 v[94:95], v[46:47], v[186:187], -v[4:5]
	v_add_f64 v[4:5], v[40:41], v[152:153]
	v_add_f64 v[4:5], v[4:5], v[156:157]
	;; [unrolled: 1-line block ×3, first 2 shown]
	v_fmac_f64_e32 v[114:115], v[28:29], v[64:65]
	v_mul_f64 v[26:27], v[28:29], v[66:67]
	v_add_f64 v[28:29], v[4:5], v[170:171]
	v_add_f64 v[4:5], v[156:157], v[166:167]
	v_fmac_f64_e32 v[90:91], v[116:117], v[48:49]
	v_fma_f64 v[106:107], v[30:31], v[64:65], -v[26:27]
	v_mul_f64 v[116:117], v[10:11], v[180:181]
	v_fma_f64 v[26:27], -0.5, v[4:5], v[40:41]
	v_add_f64 v[4:5], v[142:143], -v[168:169]
	v_fmac_f64_e32 v[116:117], v[8:9], v[178:179]
	v_fma_f64 v[30:31], s[8:9], v[4:5], v[26:27]
	v_add_f64 v[6:7], v[162:163], -v[164:165]
	v_add_f64 v[8:9], v[152:153], -v[156:157]
	;; [unrolled: 1-line block ×3, first 2 shown]
	v_fmac_f64_e32 v[26:27], s[6:7], v[4:5]
	v_fmac_f64_e32 v[30:31], s[10:11], v[6:7]
	v_add_f64 v[8:9], v[8:9], v[10:11]
	v_fmac_f64_e32 v[26:27], s[2:3], v[6:7]
	v_fmac_f64_e32 v[30:31], s[12:13], v[8:9]
	;; [unrolled: 1-line block ×3, first 2 shown]
	v_add_f64 v[8:9], v[152:153], v[170:171]
	v_fmac_f64_e32 v[98:99], v[100:101], v[120:121]
	v_mul_f64 v[100:101], v[46:47], v[188:189]
	v_fmac_f64_e32 v[40:41], -0.5, v[8:9]
	v_fmac_f64_e32 v[100:101], v[44:45], v[186:187]
	v_fma_f64 v[44:45], s[6:7], v[6:7], v[40:41]
	v_fmac_f64_e32 v[40:41], s[8:9], v[6:7]
	v_fmac_f64_e32 v[44:45], s[10:11], v[4:5]
	;; [unrolled: 1-line block ×3, first 2 shown]
	v_add_f64 v[4:5], v[42:43], v[142:143]
	v_add_f64 v[4:5], v[4:5], v[162:163]
	v_add_f64 v[4:5], v[4:5], v[164:165]
	v_mul_f64 v[112:113], v[34:35], v[78:79]
	v_add_f64 v[8:9], v[156:157], -v[152:153]
	v_add_f64 v[10:11], v[166:167], -v[170:171]
	v_add_f64 v[34:35], v[4:5], v[168:169]
	v_add_f64 v[4:5], v[162:163], v[164:165]
	;; [unrolled: 1-line block ×3, first 2 shown]
	v_fma_f64 v[48:49], -0.5, v[4:5], v[42:43]
	v_add_f64 v[4:5], v[152:153], -v[170:171]
	v_fmac_f64_e32 v[44:45], s[12:13], v[8:9]
	v_fmac_f64_e32 v[40:41], s[12:13], v[8:9]
	v_fma_f64 v[46:47], s[6:7], v[4:5], v[48:49]
	v_add_f64 v[6:7], v[156:157], -v[166:167]
	v_add_f64 v[8:9], v[142:143], -v[162:163]
	;; [unrolled: 1-line block ×3, first 2 shown]
	v_fmac_f64_e32 v[48:49], s[8:9], v[4:5]
	v_fmac_f64_e32 v[46:47], s[2:3], v[6:7]
	v_add_f64 v[8:9], v[8:9], v[10:11]
	v_fmac_f64_e32 v[48:49], s[10:11], v[6:7]
	v_fmac_f64_e32 v[46:47], s[12:13], v[8:9]
	;; [unrolled: 1-line block ×3, first 2 shown]
	v_add_f64 v[8:9], v[142:143], v[168:169]
	v_fmac_f64_e32 v[42:43], -0.5, v[8:9]
	v_fma_f64 v[50:51], s[8:9], v[6:7], v[42:43]
	v_fmac_f64_e32 v[42:43], s[6:7], v[6:7]
	v_fmac_f64_e32 v[50:51], s[2:3], v[4:5]
	v_fmac_f64_e32 v[42:43], s[10:11], v[4:5]
	v_add_f64 v[4:5], v[130:131], v[136:137]
	v_add_f64 v[4:5], v[4:5], v[158:159]
	;; [unrolled: 1-line block ×3, first 2 shown]
	v_fmac_f64_e32 v[112:113], v[32:33], v[76:77]
	v_add_f64 v[8:9], v[162:163], -v[142:143]
	v_add_f64 v[10:11], v[164:165], -v[168:169]
	v_add_f64 v[32:33], v[4:5], v[22:23]
	v_add_f64 v[4:5], v[158:159], v[160:161]
	v_mul_f64 v[96:97], v[18:19], v[176:177]
	v_mul_f64 v[118:119], v[14:15], v[184:185]
	v_add_f64 v[8:9], v[8:9], v[10:11]
	v_fma_f64 v[18:19], -0.5, v[4:5], v[130:131]
	v_add_f64 v[4:5], v[134:135], -v[20:21]
	v_fmac_f64_e32 v[118:119], v[12:13], v[182:183]
	v_fmac_f64_e32 v[50:51], s[12:13], v[8:9]
	;; [unrolled: 1-line block ×3, first 2 shown]
	v_fma_f64 v[6:7], s[8:9], v[4:5], v[18:19]
	v_add_f64 v[8:9], v[154:155], -v[24:25]
	v_add_f64 v[10:11], v[136:137], -v[158:159]
	;; [unrolled: 1-line block ×3, first 2 shown]
	v_fmac_f64_e32 v[18:19], s[6:7], v[4:5]
	v_fmac_f64_e32 v[6:7], s[10:11], v[8:9]
	v_add_f64 v[10:11], v[10:11], v[12:13]
	v_fmac_f64_e32 v[18:19], s[2:3], v[8:9]
	v_fmac_f64_e32 v[6:7], s[12:13], v[10:11]
	;; [unrolled: 1-line block ×3, first 2 shown]
	v_add_f64 v[10:11], v[136:137], v[22:23]
	v_fmac_f64_e32 v[130:131], -0.5, v[10:11]
	v_fma_f64 v[64:65], s[6:7], v[8:9], v[130:131]
	v_fmac_f64_e32 v[130:131], s[8:9], v[8:9]
	v_fmac_f64_e32 v[64:65], s[10:11], v[4:5]
	;; [unrolled: 1-line block ×3, first 2 shown]
	v_add_f64 v[4:5], v[132:133], v[134:135]
	v_add_f64 v[4:5], v[4:5], v[154:155]
	;; [unrolled: 1-line block ×3, first 2 shown]
	v_add_f64 v[10:11], v[158:159], -v[136:137]
	v_add_f64 v[12:13], v[160:161], -v[22:23]
	v_add_f64 v[66:67], v[4:5], v[20:21]
	v_add_f64 v[4:5], v[154:155], v[24:25]
	;; [unrolled: 1-line block ×3, first 2 shown]
	v_fma_f64 v[76:77], -0.5, v[4:5], v[132:133]
	v_add_f64 v[4:5], v[136:137], -v[22:23]
	v_fmac_f64_e32 v[64:65], s[12:13], v[10:11]
	v_fmac_f64_e32 v[130:131], s[12:13], v[10:11]
	v_fma_f64 v[10:11], s[6:7], v[4:5], v[76:77]
	v_add_f64 v[8:9], v[158:159], -v[160:161]
	v_add_f64 v[12:13], v[134:135], -v[154:155]
	;; [unrolled: 1-line block ×3, first 2 shown]
	v_fmac_f64_e32 v[76:77], s[8:9], v[4:5]
	v_fmac_f64_e32 v[10:11], s[2:3], v[8:9]
	v_add_f64 v[12:13], v[12:13], v[14:15]
	v_fmac_f64_e32 v[76:77], s[10:11], v[8:9]
	v_fmac_f64_e32 v[10:11], s[12:13], v[12:13]
	;; [unrolled: 1-line block ×3, first 2 shown]
	v_add_f64 v[12:13], v[134:135], v[20:21]
	v_fmac_f64_e32 v[132:133], -0.5, v[12:13]
	v_fma_f64 v[22:23], s[8:9], v[8:9], v[132:133]
	v_add_f64 v[12:13], v[154:155], -v[134:135]
	v_add_f64 v[14:15], v[24:25], -v[20:21]
	v_fmac_f64_e32 v[22:23], s[2:3], v[4:5]
	v_add_f64 v[12:13], v[12:13], v[14:15]
	v_fmac_f64_e32 v[132:133], s[6:7], v[8:9]
	v_fmac_f64_e32 v[22:23], s[12:13], v[12:13]
	;; [unrolled: 1-line block ×4, first 2 shown]
	v_mul_f64 v[78:79], v[22:23], s[8:9]
	v_mul_f64 v[136:137], v[22:23], s[12:13]
	;; [unrolled: 1-line block ×3, first 2 shown]
	v_fmac_f64_e32 v[78:79], s[12:13], v[64:65]
	v_mul_f64 v[122:123], v[76:77], s[10:11]
	v_mul_f64 v[134:135], v[10:11], s[18:19]
	v_fmac_f64_e32 v[136:137], s[6:7], v[64:65]
	v_mul_f64 v[64:65], v[132:133], s[16:17]
	v_mul_f64 v[76:77], v[76:77], s[14:15]
	v_fmac_f64_e32 v[24:25], s[18:19], v[6:7]
	v_fmac_f64_e32 v[134:135], s[2:3], v[6:7]
	;; [unrolled: 1-line block ×4, first 2 shown]
	v_add_f64 v[12:13], v[28:29], v[32:33]
	v_add_f64 v[8:9], v[30:31], v[24:25]
	v_fmac_f64_e32 v[122:123], s[14:15], v[18:19]
	v_add_f64 v[10:11], v[46:47], v[134:135]
	v_add_f64 v[22:23], v[42:43], v[64:65]
	;; [unrolled: 1-line block ×3, first 2 shown]
	v_add_f64 v[32:33], v[28:29], -v[32:33]
	v_add_f64 v[28:29], v[30:31], -v[24:25]
	;; [unrolled: 1-line block ×5, first 2 shown]
	v_add_f64 v[48:49], v[0:1], v[144:145]
	v_add_f64 v[48:49], v[48:49], v[146:147]
	v_add_f64 v[48:49], v[48:49], v[148:149]
	v_mul_f64 v[120:121], v[132:133], s[8:9]
	v_add_f64 v[76:77], v[48:49], v[150:151]
	v_add_f64 v[48:49], v[146:147], v[148:149]
	;; [unrolled: 1-line block ×3, first 2 shown]
	v_fmac_f64_e32 v[120:121], s[16:17], v[130:131]
	v_add_f64 v[24:25], v[44:45], -v[78:79]
	v_fma_f64 v[78:79], -0.5, v[48:49], v[0:1]
	v_add_f64 v[48:49], v[138:139], -v[82:83]
	v_fmac_f64_e32 v[96:97], v[16:17], v[174:175]
	v_add_f64 v[20:21], v[40:41], v[120:121]
	v_add_f64 v[16:17], v[26:27], v[122:123]
	;; [unrolled: 1-line block ×4, first 2 shown]
	v_add_f64 v[44:45], v[40:41], -v[120:121]
	v_add_f64 v[40:41], v[26:27], -v[122:123]
	v_add_f64 v[34:35], v[34:35], -v[66:67]
	v_add_f64 v[26:27], v[50:51], -v[136:137]
	v_fma_f64 v[120:121], s[8:9], v[48:49], v[78:79]
	v_add_f64 v[50:51], v[140:141], -v[80:81]
	v_add_f64 v[64:65], v[144:145], -v[146:147]
	;; [unrolled: 1-line block ×3, first 2 shown]
	v_fmac_f64_e32 v[78:79], s[6:7], v[48:49]
	v_fmac_f64_e32 v[120:121], s[10:11], v[50:51]
	v_add_f64 v[64:65], v[64:65], v[66:67]
	v_fmac_f64_e32 v[78:79], s[2:3], v[50:51]
	v_fmac_f64_e32 v[120:121], s[12:13], v[64:65]
	;; [unrolled: 1-line block ×3, first 2 shown]
	v_add_f64 v[64:65], v[144:145], v[150:151]
	v_fmac_f64_e32 v[0:1], -0.5, v[64:65]
	v_fma_f64 v[132:133], s[6:7], v[50:51], v[0:1]
	v_fmac_f64_e32 v[0:1], s[8:9], v[50:51]
	v_fmac_f64_e32 v[132:133], s[10:11], v[48:49]
	;; [unrolled: 1-line block ×3, first 2 shown]
	v_add_f64 v[48:49], v[2:3], v[138:139]
	v_add_f64 v[48:49], v[48:49], v[140:141]
	;; [unrolled: 1-line block ×3, first 2 shown]
	v_add_f64 v[64:65], v[146:147], -v[144:145]
	v_add_f64 v[66:67], v[148:149], -v[150:151]
	v_add_f64 v[122:123], v[48:49], v[82:83]
	v_add_f64 v[48:49], v[140:141], v[80:81]
	;; [unrolled: 1-line block ×3, first 2 shown]
	v_fma_f64 v[130:131], -0.5, v[48:49], v[2:3]
	v_add_f64 v[48:49], v[144:145], -v[150:151]
	v_fmac_f64_e32 v[132:133], s[12:13], v[64:65]
	v_fmac_f64_e32 v[0:1], s[12:13], v[64:65]
	v_fma_f64 v[134:135], s[6:7], v[48:49], v[130:131]
	v_add_f64 v[50:51], v[146:147], -v[148:149]
	v_add_f64 v[64:65], v[138:139], -v[140:141]
	;; [unrolled: 1-line block ×3, first 2 shown]
	v_fmac_f64_e32 v[130:131], s[8:9], v[48:49]
	v_fmac_f64_e32 v[134:135], s[2:3], v[50:51]
	v_add_f64 v[64:65], v[64:65], v[66:67]
	v_fmac_f64_e32 v[130:131], s[10:11], v[50:51]
	v_fmac_f64_e32 v[134:135], s[12:13], v[64:65]
	;; [unrolled: 1-line block ×3, first 2 shown]
	v_add_f64 v[64:65], v[138:139], v[82:83]
	v_fmac_f64_e32 v[2:3], -0.5, v[64:65]
	v_fma_f64 v[136:137], s[8:9], v[50:51], v[2:3]
	v_fmac_f64_e32 v[2:3], s[6:7], v[50:51]
	v_fmac_f64_e32 v[136:137], s[2:3], v[48:49]
	;; [unrolled: 1-line block ×3, first 2 shown]
	v_add_f64 v[48:49], v[68:69], v[72:73]
	v_add_f64 v[48:49], v[48:49], v[60:61]
	;; [unrolled: 1-line block ×3, first 2 shown]
	v_add_f64 v[64:65], v[140:141], -v[138:139]
	v_add_f64 v[66:67], v[80:81], -v[82:83]
	v_add_f64 v[80:81], v[48:49], v[74:75]
	v_add_f64 v[48:49], v[60:61], v[62:63]
	;; [unrolled: 1-line block ×3, first 2 shown]
	v_fma_f64 v[82:83], -0.5, v[48:49], v[68:69]
	v_add_f64 v[48:49], v[56:57], -v[58:59]
	v_fmac_f64_e32 v[136:137], s[12:13], v[64:65]
	v_fmac_f64_e32 v[2:3], s[12:13], v[64:65]
	v_fma_f64 v[50:51], s[8:9], v[48:49], v[82:83]
	v_add_f64 v[64:65], v[52:53], -v[54:55]
	v_add_f64 v[66:67], v[72:73], -v[60:61]
	;; [unrolled: 1-line block ×3, first 2 shown]
	v_fmac_f64_e32 v[82:83], s[6:7], v[48:49]
	v_fmac_f64_e32 v[50:51], s[10:11], v[64:65]
	v_add_f64 v[66:67], v[66:67], v[138:139]
	v_fmac_f64_e32 v[82:83], s[2:3], v[64:65]
	v_fmac_f64_e32 v[50:51], s[12:13], v[66:67]
	v_fmac_f64_e32 v[82:83], s[12:13], v[66:67]
	v_add_f64 v[66:67], v[72:73], v[74:75]
	v_fmac_f64_e32 v[68:69], -0.5, v[66:67]
	v_fma_f64 v[66:67], s[6:7], v[64:65], v[68:69]
	v_fmac_f64_e32 v[68:69], s[8:9], v[64:65]
	v_fmac_f64_e32 v[66:67], s[10:11], v[48:49]
	;; [unrolled: 1-line block ×3, first 2 shown]
	v_add_f64 v[48:49], v[70:71], v[56:57]
	v_add_f64 v[138:139], v[60:61], -v[72:73]
	v_add_f64 v[140:141], v[62:63], -v[74:75]
	v_add_f64 v[48:49], v[48:49], v[52:53]
	v_add_f64 v[138:139], v[138:139], v[140:141]
	v_add_f64 v[48:49], v[48:49], v[54:55]
	v_fmac_f64_e32 v[66:67], s[12:13], v[138:139]
	v_fmac_f64_e32 v[68:69], s[12:13], v[138:139]
	v_add_f64 v[138:139], v[48:49], v[58:59]
	v_add_f64 v[48:49], v[52:53], v[54:55]
	v_fma_f64 v[140:141], -0.5, v[48:49], v[70:71]
	v_add_f64 v[48:49], v[72:73], -v[74:75]
	v_fma_f64 v[72:73], s[6:7], v[48:49], v[140:141]
	v_add_f64 v[60:61], v[60:61], -v[62:63]
	v_add_f64 v[62:63], v[56:57], -v[52:53]
	;; [unrolled: 1-line block ×3, first 2 shown]
	v_fmac_f64_e32 v[140:141], s[8:9], v[48:49]
	v_fmac_f64_e32 v[72:73], s[2:3], v[60:61]
	v_add_f64 v[62:63], v[62:63], v[64:65]
	v_fmac_f64_e32 v[140:141], s[10:11], v[60:61]
	v_fmac_f64_e32 v[72:73], s[12:13], v[62:63]
	;; [unrolled: 1-line block ×3, first 2 shown]
	v_add_f64 v[62:63], v[56:57], v[58:59]
	v_fmac_f64_e32 v[70:71], -0.5, v[62:63]
	v_fma_f64 v[62:63], s[8:9], v[60:61], v[70:71]
	v_add_f64 v[52:53], v[52:53], -v[56:57]
	v_add_f64 v[54:55], v[54:55], -v[58:59]
	v_fmac_f64_e32 v[70:71], s[6:7], v[60:61]
	v_mul_f64 v[74:75], v[72:73], s[10:11]
	v_fmac_f64_e32 v[62:63], s[2:3], v[48:49]
	v_add_f64 v[52:53], v[52:53], v[54:55]
	v_fmac_f64_e32 v[70:71], s[10:11], v[48:49]
	v_fmac_f64_e32 v[74:75], s[18:19], v[50:51]
	;; [unrolled: 1-line block ×4, first 2 shown]
	v_add_f64 v[52:53], v[120:121], v[74:75]
	v_mul_f64 v[148:149], v[72:73], s[18:19]
	v_add_f64 v[72:73], v[120:121], -v[74:75]
	v_add_f64 v[120:121], v[36:37], v[112:113]
	v_mul_f64 v[142:143], v[62:63], s[8:9]
	v_add_f64 v[120:121], v[120:121], v[114:115]
	v_fmac_f64_e32 v[142:143], s[12:13], v[66:67]
	v_mul_f64 v[144:145], v[70:71], s[8:9]
	v_mul_f64 v[146:147], v[140:141], s[10:11]
	;; [unrolled: 1-line block ×4, first 2 shown]
	v_add_f64 v[120:121], v[120:121], v[116:117]
	v_add_f64 v[48:49], v[132:133], v[142:143]
	v_fmac_f64_e32 v[144:145], s[16:17], v[68:69]
	v_mul_f64 v[150:151], v[62:63], s[12:13]
	v_fmac_f64_e32 v[152:153], s[6:7], v[68:69]
	v_fmac_f64_e32 v[140:141], s[2:3], v[82:83]
	v_add_f64 v[68:69], v[132:133], -v[142:143]
	v_add_f64 v[132:133], v[120:121], v[118:119]
	v_add_f64 v[120:121], v[114:115], v[116:117]
	v_fmac_f64_e32 v[146:147], s[14:15], v[82:83]
	v_fmac_f64_e32 v[148:149], s[2:3], v[50:51]
	;; [unrolled: 1-line block ×3, first 2 shown]
	v_add_f64 v[66:67], v[2:3], v[152:153]
	v_add_f64 v[62:63], v[130:131], v[140:141]
	v_add_f64 v[82:83], v[2:3], -v[152:153]
	v_add_f64 v[2:3], v[130:131], -v[140:141]
	v_fma_f64 v[130:131], -0.5, v[120:121], v[36:37]
	v_add_f64 v[120:121], v[104:105], -v[110:111]
	v_add_f64 v[56:57], v[76:77], v[80:81]
	v_add_f64 v[64:65], v[0:1], v[144:145]
	;; [unrolled: 1-line block ×6, first 2 shown]
	v_add_f64 v[76:77], v[76:77], -v[80:81]
	v_add_f64 v[80:81], v[0:1], -v[144:145]
	v_add_f64 v[0:1], v[78:79], -v[146:147]
	v_add_f64 v[78:79], v[122:123], -v[138:139]
	v_add_f64 v[74:75], v[134:135], -v[148:149]
	v_add_f64 v[70:71], v[136:137], -v[150:151]
	v_fma_f64 v[134:135], s[8:9], v[120:121], v[130:131]
	v_add_f64 v[122:123], v[106:107], -v[108:109]
	v_add_f64 v[136:137], v[112:113], -v[114:115]
	;; [unrolled: 1-line block ×3, first 2 shown]
	v_fmac_f64_e32 v[130:131], s[6:7], v[120:121]
	v_fmac_f64_e32 v[134:135], s[10:11], v[122:123]
	v_add_f64 v[136:137], v[136:137], v[138:139]
	v_fmac_f64_e32 v[130:131], s[2:3], v[122:123]
	v_fmac_f64_e32 v[134:135], s[12:13], v[136:137]
	;; [unrolled: 1-line block ×3, first 2 shown]
	v_add_f64 v[136:137], v[112:113], v[118:119]
	v_fmac_f64_e32 v[36:37], -0.5, v[136:137]
	v_fma_f64 v[138:139], s[6:7], v[122:123], v[36:37]
	v_fmac_f64_e32 v[36:37], s[8:9], v[122:123]
	v_fmac_f64_e32 v[138:139], s[10:11], v[120:121]
	;; [unrolled: 1-line block ×3, first 2 shown]
	v_add_f64 v[120:121], v[38:39], v[104:105]
	v_add_f64 v[136:137], v[114:115], -v[112:113]
	v_add_f64 v[140:141], v[116:117], -v[118:119]
	v_add_f64 v[120:121], v[120:121], v[106:107]
	v_add_f64 v[136:137], v[136:137], v[140:141]
	;; [unrolled: 1-line block ×3, first 2 shown]
	v_fmac_f64_e32 v[138:139], s[12:13], v[136:137]
	v_fmac_f64_e32 v[36:37], s[12:13], v[136:137]
	v_add_f64 v[136:137], v[120:121], v[110:111]
	v_add_f64 v[120:121], v[106:107], v[108:109]
	v_fma_f64 v[120:121], -0.5, v[120:121], v[38:39]
	v_add_f64 v[112:113], v[112:113], -v[118:119]
	v_fma_f64 v[118:119], s[6:7], v[112:113], v[120:121]
	v_add_f64 v[114:115], v[114:115], -v[116:117]
	v_add_f64 v[116:117], v[104:105], -v[106:107]
	;; [unrolled: 1-line block ×3, first 2 shown]
	v_fmac_f64_e32 v[120:121], s[8:9], v[112:113]
	v_fmac_f64_e32 v[118:119], s[2:3], v[114:115]
	v_add_f64 v[116:117], v[116:117], v[122:123]
	v_fmac_f64_e32 v[120:121], s[10:11], v[114:115]
	v_fmac_f64_e32 v[118:119], s[12:13], v[116:117]
	;; [unrolled: 1-line block ×3, first 2 shown]
	v_add_f64 v[116:117], v[104:105], v[110:111]
	v_add_f64 v[104:105], v[106:107], -v[104:105]
	v_add_f64 v[106:107], v[108:109], -v[110:111]
	v_fmac_f64_e32 v[38:39], -0.5, v[116:117]
	v_add_f64 v[104:105], v[104:105], v[106:107]
	v_add_f64 v[106:107], v[92:93], v[96:97]
	v_fma_f64 v[140:141], s[8:9], v[114:115], v[38:39]
	v_fmac_f64_e32 v[38:39], s[6:7], v[114:115]
	v_fma_f64 v[106:107], -0.5, v[106:107], v[98:99]
	v_add_f64 v[108:109], v[84:85], -v[94:95]
	v_fmac_f64_e32 v[140:141], s[2:3], v[112:113]
	v_fmac_f64_e32 v[38:39], s[10:11], v[112:113]
	v_fma_f64 v[110:111], s[8:9], v[108:109], v[106:107]
	v_add_f64 v[112:113], v[86:87], -v[88:89]
	v_add_f64 v[114:115], v[90:91], -v[92:93]
	;; [unrolled: 1-line block ×3, first 2 shown]
	v_fmac_f64_e32 v[106:107], s[6:7], v[108:109]
	v_fmac_f64_e32 v[110:111], s[10:11], v[112:113]
	v_add_f64 v[114:115], v[114:115], v[116:117]
	v_fmac_f64_e32 v[106:107], s[2:3], v[112:113]
	v_fmac_f64_e32 v[110:111], s[12:13], v[114:115]
	;; [unrolled: 1-line block ×3, first 2 shown]
	v_add_f64 v[114:115], v[90:91], v[100:101]
	v_fmac_f64_e32 v[140:141], s[12:13], v[104:105]
	v_fmac_f64_e32 v[38:39], s[12:13], v[104:105]
	v_add_f64 v[104:105], v[98:99], v[90:91]
	v_fmac_f64_e32 v[98:99], -0.5, v[114:115]
	v_fma_f64 v[114:115], s[6:7], v[112:113], v[98:99]
	v_fmac_f64_e32 v[98:99], s[8:9], v[112:113]
	v_fmac_f64_e32 v[114:115], s[10:11], v[108:109]
	;; [unrolled: 1-line block ×3, first 2 shown]
	v_add_f64 v[108:109], v[102:103], v[84:85]
	v_add_f64 v[108:109], v[108:109], v[86:87]
	;; [unrolled: 1-line block ×7, first 2 shown]
	v_add_f64 v[116:117], v[92:93], -v[90:91]
	v_fma_f64 v[108:109], -0.5, v[108:109], v[102:103]
	v_add_f64 v[90:91], v[90:91], -v[100:101]
	v_add_f64 v[104:105], v[104:105], v[100:101]
	v_add_f64 v[122:123], v[96:97], -v[100:101]
	v_fma_f64 v[112:113], s[6:7], v[90:91], v[108:109]
	v_add_f64 v[92:93], v[92:93], -v[96:97]
	v_add_f64 v[96:97], v[84:85], -v[86:87]
	;; [unrolled: 1-line block ×3, first 2 shown]
	v_fmac_f64_e32 v[108:109], s[8:9], v[90:91]
	v_fmac_f64_e32 v[112:113], s[2:3], v[92:93]
	v_add_f64 v[96:97], v[96:97], v[100:101]
	v_fmac_f64_e32 v[108:109], s[10:11], v[92:93]
	v_fmac_f64_e32 v[112:113], s[12:13], v[96:97]
	;; [unrolled: 1-line block ×3, first 2 shown]
	v_add_f64 v[96:97], v[84:85], v[94:95]
	v_add_f64 v[116:117], v[116:117], v[122:123]
	v_fmac_f64_e32 v[102:103], -0.5, v[96:97]
	v_fmac_f64_e32 v[114:115], s[12:13], v[116:117]
	v_fmac_f64_e32 v[98:99], s[12:13], v[116:117]
	v_fma_f64 v[116:117], s[8:9], v[92:93], v[102:103]
	v_add_f64 v[84:85], v[86:87], -v[84:85]
	v_add_f64 v[86:87], v[88:89], -v[94:95]
	v_fmac_f64_e32 v[102:103], s[6:7], v[92:93]
	v_fmac_f64_e32 v[116:117], s[2:3], v[90:91]
	v_add_f64 v[84:85], v[84:85], v[86:87]
	v_fmac_f64_e32 v[102:103], s[10:11], v[90:91]
	v_fmac_f64_e32 v[116:117], s[12:13], v[84:85]
	;; [unrolled: 1-line block ×3, first 2 shown]
	v_mul_f64 v[144:145], v[112:113], s[10:11]
	v_mul_f64 v[146:147], v[116:117], s[8:9]
	;; [unrolled: 1-line block ×8, first 2 shown]
	v_fmac_f64_e32 v[144:145], s[18:19], v[110:111]
	v_fmac_f64_e32 v[146:147], s[12:13], v[114:115]
	;; [unrolled: 1-line block ×8, first 2 shown]
	v_add_f64 v[92:93], v[132:133], v[104:105]
	v_add_f64 v[88:89], v[134:135], v[144:145]
	;; [unrolled: 1-line block ×10, first 2 shown]
	v_add_f64 v[112:113], v[132:133], -v[104:105]
	v_add_f64 v[108:109], v[134:135], -v[144:145]
	;; [unrolled: 1-line block ×10, first 2 shown]
	ds_write_b128 v172, v[12:15]
	ds_write_b128 v172, v[8:11] offset:4800
	ds_write_b128 v172, v[4:7] offset:9600
	;; [unrolled: 1-line block ×19, first 2 shown]
	ds_write_b128 v127, v[92:95]
	ds_write_b128 v127, v[88:91] offset:4800
	ds_write_b128 v127, v[84:87] offset:9600
	ds_write_b128 v127, v[100:103] offset:14400
	ds_write_b128 v127, v[96:99] offset:19200
	ds_write_b128 v127, v[112:115] offset:24000
	ds_write_b128 v127, v[108:111] offset:28800
	ds_write_b128 v127, v[104:107] offset:33600
	ds_write_b128 v127, v[116:119] offset:38400
	ds_write_b128 v127, v[36:39] offset:43200
	s_waitcnt lgkmcnt(0)
	s_barrier
	s_and_saveexec_b64 s[2:3], s[0:1]
	s_cbranch_execz .LBB0_19
; %bb.18:
	v_lshl_add_u32 v14, v126, 4, 0
	ds_read_b128 v[0:3], v14
	v_mov_b32_e32 v127, v129
	v_lshl_add_u64 v[12:13], v[126:127], 4, v[124:125]
	ds_read_b128 v[4:7], v14 offset:46400
	ds_read_b128 v[8:11], v14 offset:1600
	v_add_u32_e32 v128, 0x64, v126
	s_waitcnt lgkmcnt(2)
	global_store_dwordx4 v[12:13], v[0:3], off
	ds_read_b128 v[0:3], v14 offset:3200
	v_lshl_add_u64 v[12:13], v[128:129], 4, v[124:125]
	v_add_u32_e32 v128, 0xc8, v126
	s_waitcnt lgkmcnt(1)
	global_store_dwordx4 v[12:13], v[8:11], off
	ds_read_b128 v[8:11], v14 offset:4800
	v_lshl_add_u64 v[12:13], v[128:129], 4, v[124:125]
	s_waitcnt lgkmcnt(1)
	global_store_dwordx4 v[12:13], v[0:3], off
	ds_read_b128 v[0:3], v14 offset:6400
	v_add_u32_e32 v128, 0x12c, v126
	v_lshl_add_u64 v[12:13], v[128:129], 4, v[124:125]
	v_add_u32_e32 v128, 0x190, v126
	s_waitcnt lgkmcnt(1)
	global_store_dwordx4 v[12:13], v[8:11], off
	ds_read_b128 v[8:11], v14 offset:8000
	v_lshl_add_u64 v[12:13], v[128:129], 4, v[124:125]
	s_waitcnt lgkmcnt(1)
	global_store_dwordx4 v[12:13], v[0:3], off
	ds_read_b128 v[0:3], v14 offset:9600
	v_add_u32_e32 v128, 0x1f4, v126
	;; [unrolled: 10-line block ×9, first 2 shown]
	v_lshl_add_u64 v[12:13], v[128:129], 4, v[124:125]
	v_add_u32_e32 v128, 0x7d0, v126
	s_waitcnt lgkmcnt(1)
	global_store_dwordx4 v[12:13], v[8:11], off
	v_lshl_add_u64 v[12:13], v[128:129], 4, v[124:125]
	ds_read_b128 v[8:11], v14 offset:33600
	s_waitcnt lgkmcnt(1)
	global_store_dwordx4 v[12:13], v[0:3], off
	ds_read_b128 v[0:3], v14 offset:35200
	v_add_u32_e32 v128, 0x834, v126
	v_lshl_add_u64 v[12:13], v[128:129], 4, v[124:125]
	v_add_u32_e32 v128, 0x898, v126
	s_waitcnt lgkmcnt(1)
	global_store_dwordx4 v[12:13], v[8:11], off
	v_lshl_add_u64 v[12:13], v[128:129], 4, v[124:125]
	ds_read_b128 v[8:11], v14 offset:36800
	s_waitcnt lgkmcnt(1)
	global_store_dwordx4 v[12:13], v[0:3], off
	ds_read_b128 v[0:3], v14 offset:38400
	v_add_u32_e32 v128, 0x8fc, v126
	;; [unrolled: 10-line block ×4, first 2 shown]
	v_lshl_add_u64 v[12:13], v[128:129], 4, v[124:125]
	v_add_u32_e32 v128, 0xaf0, v126
	s_waitcnt lgkmcnt(1)
	global_store_dwordx4 v[12:13], v[8:11], off
	s_nop 1
	v_lshl_add_u64 v[8:9], v[128:129], 4, v[124:125]
	v_add_u32_e32 v128, 0xb54, v126
	s_waitcnt lgkmcnt(0)
	global_store_dwordx4 v[8:9], v[0:3], off
	s_nop 1
	v_lshl_add_u64 v[0:1], v[128:129], 4, v[124:125]
	global_store_dwordx4 v[0:1], v[4:7], off
.LBB0_19:
	s_endpgm
	.section	.rodata,"a",@progbits
	.p2align	6, 0x0
	.amdhsa_kernel fft_rtc_back_len3000_factors_10_3_10_10_wgs_100_tpt_100_halfLds_dp_ip_CI_unitstride_sbrr_C2R_dirReg
		.amdhsa_group_segment_fixed_size 0
		.amdhsa_private_segment_fixed_size 0
		.amdhsa_kernarg_size 88
		.amdhsa_user_sgpr_count 2
		.amdhsa_user_sgpr_dispatch_ptr 0
		.amdhsa_user_sgpr_queue_ptr 0
		.amdhsa_user_sgpr_kernarg_segment_ptr 1
		.amdhsa_user_sgpr_dispatch_id 0
		.amdhsa_user_sgpr_kernarg_preload_length 0
		.amdhsa_user_sgpr_kernarg_preload_offset 0
		.amdhsa_user_sgpr_private_segment_size 0
		.amdhsa_uses_dynamic_stack 0
		.amdhsa_enable_private_segment 0
		.amdhsa_system_sgpr_workgroup_id_x 1
		.amdhsa_system_sgpr_workgroup_id_y 0
		.amdhsa_system_sgpr_workgroup_id_z 0
		.amdhsa_system_sgpr_workgroup_info 0
		.amdhsa_system_vgpr_workitem_id 0
		.amdhsa_next_free_vgpr 194
		.amdhsa_next_free_sgpr 28
		.amdhsa_accum_offset 196
		.amdhsa_reserve_vcc 1
		.amdhsa_float_round_mode_32 0
		.amdhsa_float_round_mode_16_64 0
		.amdhsa_float_denorm_mode_32 3
		.amdhsa_float_denorm_mode_16_64 3
		.amdhsa_dx10_clamp 1
		.amdhsa_ieee_mode 1
		.amdhsa_fp16_overflow 0
		.amdhsa_tg_split 0
		.amdhsa_exception_fp_ieee_invalid_op 0
		.amdhsa_exception_fp_denorm_src 0
		.amdhsa_exception_fp_ieee_div_zero 0
		.amdhsa_exception_fp_ieee_overflow 0
		.amdhsa_exception_fp_ieee_underflow 0
		.amdhsa_exception_fp_ieee_inexact 0
		.amdhsa_exception_int_div_zero 0
	.end_amdhsa_kernel
	.text
.Lfunc_end0:
	.size	fft_rtc_back_len3000_factors_10_3_10_10_wgs_100_tpt_100_halfLds_dp_ip_CI_unitstride_sbrr_C2R_dirReg, .Lfunc_end0-fft_rtc_back_len3000_factors_10_3_10_10_wgs_100_tpt_100_halfLds_dp_ip_CI_unitstride_sbrr_C2R_dirReg
                                        ; -- End function
	.section	.AMDGPU.csdata,"",@progbits
; Kernel info:
; codeLenInByte = 21188
; NumSgprs: 34
; NumVgprs: 194
; NumAgprs: 0
; TotalNumVgprs: 194
; ScratchSize: 0
; MemoryBound: 0
; FloatMode: 240
; IeeeMode: 1
; LDSByteSize: 0 bytes/workgroup (compile time only)
; SGPRBlocks: 4
; VGPRBlocks: 24
; NumSGPRsForWavesPerEU: 34
; NumVGPRsForWavesPerEU: 194
; AccumOffset: 196
; Occupancy: 2
; WaveLimiterHint : 1
; COMPUTE_PGM_RSRC2:SCRATCH_EN: 0
; COMPUTE_PGM_RSRC2:USER_SGPR: 2
; COMPUTE_PGM_RSRC2:TRAP_HANDLER: 0
; COMPUTE_PGM_RSRC2:TGID_X_EN: 1
; COMPUTE_PGM_RSRC2:TGID_Y_EN: 0
; COMPUTE_PGM_RSRC2:TGID_Z_EN: 0
; COMPUTE_PGM_RSRC2:TIDIG_COMP_CNT: 0
; COMPUTE_PGM_RSRC3_GFX90A:ACCUM_OFFSET: 48
; COMPUTE_PGM_RSRC3_GFX90A:TG_SPLIT: 0
	.text
	.p2alignl 6, 3212836864
	.fill 256, 4, 3212836864
	.type	__hip_cuid_67e4fbae97e8a516,@object ; @__hip_cuid_67e4fbae97e8a516
	.section	.bss,"aw",@nobits
	.globl	__hip_cuid_67e4fbae97e8a516
__hip_cuid_67e4fbae97e8a516:
	.byte	0                               ; 0x0
	.size	__hip_cuid_67e4fbae97e8a516, 1

	.ident	"AMD clang version 19.0.0git (https://github.com/RadeonOpenCompute/llvm-project roc-6.4.0 25133 c7fe45cf4b819c5991fe208aaa96edf142730f1d)"
	.section	".note.GNU-stack","",@progbits
	.addrsig
	.addrsig_sym __hip_cuid_67e4fbae97e8a516
	.amdgpu_metadata
---
amdhsa.kernels:
  - .agpr_count:     0
    .args:
      - .actual_access:  read_only
        .address_space:  global
        .offset:         0
        .size:           8
        .value_kind:     global_buffer
      - .offset:         8
        .size:           8
        .value_kind:     by_value
      - .actual_access:  read_only
        .address_space:  global
        .offset:         16
        .size:           8
        .value_kind:     global_buffer
      - .actual_access:  read_only
        .address_space:  global
        .offset:         24
        .size:           8
        .value_kind:     global_buffer
      - .offset:         32
        .size:           8
        .value_kind:     by_value
      - .actual_access:  read_only
        .address_space:  global
        .offset:         40
        .size:           8
        .value_kind:     global_buffer
      - .actual_access:  read_only
        .address_space:  global
        .offset:         48
        .size:           8
        .value_kind:     global_buffer
      - .offset:         56
        .size:           4
        .value_kind:     by_value
      - .actual_access:  read_only
        .address_space:  global
        .offset:         64
        .size:           8
        .value_kind:     global_buffer
      - .actual_access:  read_only
        .address_space:  global
        .offset:         72
        .size:           8
        .value_kind:     global_buffer
      - .address_space:  global
        .offset:         80
        .size:           8
        .value_kind:     global_buffer
    .group_segment_fixed_size: 0
    .kernarg_segment_align: 8
    .kernarg_segment_size: 88
    .language:       OpenCL C
    .language_version:
      - 2
      - 0
    .max_flat_workgroup_size: 100
    .name:           fft_rtc_back_len3000_factors_10_3_10_10_wgs_100_tpt_100_halfLds_dp_ip_CI_unitstride_sbrr_C2R_dirReg
    .private_segment_fixed_size: 0
    .sgpr_count:     34
    .sgpr_spill_count: 0
    .symbol:         fft_rtc_back_len3000_factors_10_3_10_10_wgs_100_tpt_100_halfLds_dp_ip_CI_unitstride_sbrr_C2R_dirReg.kd
    .uniform_work_group_size: 1
    .uses_dynamic_stack: false
    .vgpr_count:     194
    .vgpr_spill_count: 0
    .wavefront_size: 64
amdhsa.target:   amdgcn-amd-amdhsa--gfx950
amdhsa.version:
  - 1
  - 2
...

	.end_amdgpu_metadata
